;; amdgpu-corpus repo=ROCm/rocFFT kind=compiled arch=gfx1030 opt=O3
	.text
	.amdgcn_target "amdgcn-amd-amdhsa--gfx1030"
	.amdhsa_code_object_version 6
	.protected	bluestein_single_fwd_len1547_dim1_half_op_CI_CI ; -- Begin function bluestein_single_fwd_len1547_dim1_half_op_CI_CI
	.globl	bluestein_single_fwd_len1547_dim1_half_op_CI_CI
	.p2align	8
	.type	bluestein_single_fwd_len1547_dim1_half_op_CI_CI,@function
bluestein_single_fwd_len1547_dim1_half_op_CI_CI: ; @bluestein_single_fwd_len1547_dim1_half_op_CI_CI
; %bb.0:
	s_load_dwordx4 s[0:3], s[4:5], 0x28
	v_mul_u32_u24_e32 v1, 0x227, v0
	v_mov_b32_e32 v21, 0
	v_lshrrev_b32_e32 v1, 16, v1
	v_add_nc_u32_e32 v20, s6, v1
	s_waitcnt lgkmcnt(0)
	v_cmp_gt_u64_e32 vcc_lo, s[0:1], v[20:21]
	s_and_saveexec_b32 s0, vcc_lo
	s_cbranch_execz .LBB0_23
; %bb.1:
	s_clause 0x1
	s_load_dwordx2 s[8:9], s[4:5], 0x0
	s_load_dwordx2 s[10:11], s[4:5], 0x38
	v_mul_lo_u16 v1, 0x77, v1
	v_sub_nc_u16 v0, v0, v1
	v_and_b32_e32 v48, 0xffff, v0
	v_cmp_gt_u16_e32 vcc_lo, 0x5b, v0
	v_lshlrev_b32_e32 v47, 2, v48
	s_and_saveexec_b32 s1, vcc_lo
	s_cbranch_execz .LBB0_3
; %bb.2:
	s_load_dwordx2 s[6:7], s[4:5], 0x18
	v_add_nc_u32_e32 v37, 0x400, v47
	v_add_nc_u32_e32 v38, 0x800, v47
	;; [unrolled: 1-line block ×4, first 2 shown]
	s_waitcnt lgkmcnt(0)
	s_load_dwordx4 s[12:15], s[6:7], 0x0
	s_waitcnt lgkmcnt(0)
	v_mad_u64_u32 v[0:1], null, s14, v20, 0
	v_mad_u64_u32 v[2:3], null, s12, v48, 0
	s_mul_i32 s6, s13, 0x16c
	s_mul_hi_u32 s7, s12, 0x16c
	v_mad_u64_u32 v[4:5], null, s15, v20, v[1:2]
	v_mad_u64_u32 v[5:6], null, s13, v48, v[3:4]
	v_mov_b32_e32 v1, v4
	v_add_co_u32 v6, s0, s8, v47
	v_add_co_ci_u32_e64 v7, null, s9, 0, s0
	v_lshlrev_b64 v[0:1], 2, v[0:1]
	v_mov_b32_e32 v3, v5
	v_add_co_u32 v0, s0, s2, v0
	v_lshlrev_b64 v[2:3], 2, v[2:3]
	v_add_co_ci_u32_e64 v1, s0, s3, v1, s0
	s_mul_i32 s2, s12, 0x16c
	s_add_i32 s3, s7, s6
	v_add_co_u32 v0, s0, v0, v2
	v_add_co_ci_u32_e64 v1, s0, v1, v3, s0
	v_add_co_u32 v2, s0, v0, s2
	v_add_co_ci_u32_e64 v3, s0, s3, v1, s0
	global_load_dword v8, v[0:1], off
	v_add_co_u32 v0, s0, v2, s2
	v_add_co_ci_u32_e64 v1, s0, s3, v3, s0
	s_clause 0x5
	global_load_dword v9, v47, s[8:9]
	global_load_dword v10, v47, s[8:9] offset:364
	global_load_dword v11, v47, s[8:9] offset:728
	;; [unrolled: 1-line block ×5, first 2 shown]
	s_clause 0x1
	global_load_dword v15, v[2:3], off
	global_load_dword v16, v[0:1], off
	v_add_co_u32 v0, s0, v0, s2
	v_add_co_ci_u32_e64 v1, s0, s3, v1, s0
	v_add_co_u32 v2, s0, 0x800, v6
	v_add_co_ci_u32_e64 v3, s0, 0, v7, s0
	;; [unrolled: 2-line block ×3, first 2 shown]
	s_clause 0x1
	global_load_dword v17, v[0:1], off
	global_load_dword v18, v[4:5], off
	v_add_co_u32 v0, s0, v4, s2
	v_add_co_ci_u32_e64 v1, s0, s3, v5, s0
	v_add_co_u32 v4, s0, v0, s2
	v_add_co_ci_u32_e64 v5, s0, s3, v1, s0
	global_load_dword v19, v[0:1], off
	v_add_co_u32 v0, s0, v4, s2
	v_add_co_ci_u32_e64 v1, s0, s3, v5, s0
	v_add_co_u32 v6, s0, 0x1000, v6
	v_add_co_ci_u32_e64 v7, s0, 0, v7, s0
	global_load_dword v21, v[2:3], off offset:136
	global_load_dword v22, v[4:5], off
	global_load_dword v23, v[0:1], off
	v_add_co_u32 v0, s0, v0, s2
	v_add_co_ci_u32_e64 v1, s0, s3, v1, s0
	s_clause 0x1
	global_load_dword v24, v[2:3], off offset:500
	global_load_dword v25, v[2:3], off offset:864
	v_add_co_u32 v4, s0, v0, s2
	v_add_co_ci_u32_e64 v5, s0, s3, v1, s0
	global_load_dword v26, v[0:1], off
	v_add_co_u32 v0, s0, v4, s2
	v_add_co_ci_u32_e64 v1, s0, s3, v5, s0
	global_load_dword v4, v[4:5], off
	s_clause 0x2
	global_load_dword v5, v[2:3], off offset:1228
	global_load_dword v27, v[2:3], off offset:1592
	;; [unrolled: 1-line block ×3, first 2 shown]
	global_load_dword v29, v[0:1], off
	v_add_co_u32 v0, s0, v0, s2
	v_add_co_ci_u32_e64 v1, s0, s3, v1, s0
	s_clause 0x1
	global_load_dword v30, v[6:7], off offset:272
	global_load_dword v31, v[6:7], off offset:636
	v_add_co_u32 v2, s0, v0, s2
	v_add_co_ci_u32_e64 v3, s0, s3, v1, s0
	global_load_dword v32, v[0:1], off
	v_add_co_u32 v0, s0, v2, s2
	v_add_co_ci_u32_e64 v1, s0, s3, v3, s0
	global_load_dword v33, v[2:3], off
	;; [unrolled: 3-line block ×4, first 2 shown]
	v_add_co_u32 v2, s0, v0, s2
	v_add_co_ci_u32_e64 v3, s0, s3, v1, s0
	global_load_dword v36, v[6:7], off offset:1000
	global_load_dword v0, v[0:1], off
	global_load_dword v1, v[2:3], off
	s_clause 0x1
	global_load_dword v2, v[6:7], off offset:1364
	global_load_dword v3, v[6:7], off offset:1728
	v_add_nc_u32_e32 v6, 0x200, v47
	s_waitcnt vmcnt(33)
	v_lshrrev_b32_e32 v7, 16, v8
	s_waitcnt vmcnt(32)
	v_mul_f16_sdwa v40, v9, v8 dst_sel:DWORD dst_unused:UNUSED_PAD src0_sel:WORD_1 src1_sel:DWORD
	s_waitcnt vmcnt(26)
	v_lshrrev_b32_e32 v42, 16, v15
	v_mul_f16_sdwa v41, v9, v7 dst_sel:DWORD dst_unused:UNUSED_PAD src0_sel:WORD_1 src1_sel:DWORD
	v_mul_f16_sdwa v44, v10, v15 dst_sel:DWORD dst_unused:UNUSED_PAD src0_sel:WORD_1 src1_sel:DWORD
	v_fma_f16 v7, v9, v7, -v40
	v_fmac_f16_e32 v41, v9, v8
	v_mul_f16_sdwa v8, v10, v42 dst_sel:DWORD dst_unused:UNUSED_PAD src0_sel:WORD_1 src1_sel:DWORD
	s_waitcnt vmcnt(25)
	v_lshrrev_b32_e32 v9, 16, v16
	v_fma_f16 v40, v10, v42, -v44
	v_mul_f16_sdwa v42, v11, v16 dst_sel:DWORD dst_unused:UNUSED_PAD src0_sel:WORD_1 src1_sel:DWORD
	v_pack_b32_f16 v7, v41, v7
	v_fmac_f16_e32 v8, v10, v15
	v_mul_f16_sdwa v10, v11, v9 dst_sel:DWORD dst_unused:UNUSED_PAD src0_sel:WORD_1 src1_sel:DWORD
	s_waitcnt vmcnt(24)
	v_lshrrev_b32_e32 v15, 16, v17
	v_mul_f16_sdwa v41, v12, v17 dst_sel:DWORD dst_unused:UNUSED_PAD src0_sel:WORD_1 src1_sel:DWORD
	v_fma_f16 v9, v11, v9, -v42
	v_pack_b32_f16 v8, v8, v40
	v_fmac_f16_e32 v10, v11, v16
	v_mul_f16_sdwa v11, v12, v15 dst_sel:DWORD dst_unused:UNUSED_PAD src0_sel:WORD_1 src1_sel:DWORD
	s_waitcnt vmcnt(23)
	v_lshrrev_b32_e32 v16, 16, v18
	v_fma_f16 v15, v12, v15, -v41
	v_mul_f16_sdwa v40, v13, v18 dst_sel:DWORD dst_unused:UNUSED_PAD src0_sel:WORD_1 src1_sel:DWORD
	ds_write2_b32 v47, v7, v8 offset1:91
	v_pack_b32_f16 v7, v10, v9
	v_fmac_f16_e32 v11, v12, v17
	v_mul_f16_sdwa v8, v13, v16 dst_sel:DWORD dst_unused:UNUSED_PAD src0_sel:WORD_1 src1_sel:DWORD
	s_waitcnt vmcnt(22)
	v_lshrrev_b32_e32 v9, 16, v19
	v_mul_f16_sdwa v10, v14, v19 dst_sel:DWORD dst_unused:UNUSED_PAD src0_sel:WORD_1 src1_sel:DWORD
	v_fma_f16 v12, v13, v16, -v40
	v_pack_b32_f16 v11, v11, v15
	v_fmac_f16_e32 v8, v13, v18
	v_mul_f16_sdwa v13, v14, v9 dst_sel:DWORD dst_unused:UNUSED_PAD src0_sel:WORD_1 src1_sel:DWORD
	v_fma_f16 v9, v14, v9, -v10
	s_waitcnt vmcnt(20)
	v_lshrrev_b32_e32 v10, 16, v22
	ds_write2_b32 v6, v7, v11 offset0:54 offset1:145
	v_pack_b32_f16 v6, v8, v12
	v_fmac_f16_e32 v13, v14, v19
	s_waitcnt vmcnt(19)
	v_lshrrev_b32_e32 v8, 16, v23
	v_mul_f16_sdwa v15, v21, v22 dst_sel:DWORD dst_unused:UNUSED_PAD src0_sel:WORD_1 src1_sel:DWORD
	v_mul_f16_sdwa v7, v21, v10 dst_sel:DWORD dst_unused:UNUSED_PAD src0_sel:WORD_1 src1_sel:DWORD
	s_waitcnt vmcnt(18)
	v_mul_f16_sdwa v11, v24, v23 dst_sel:DWORD dst_unused:UNUSED_PAD src0_sel:WORD_1 src1_sel:DWORD
	v_pack_b32_f16 v9, v13, v9
	v_mul_f16_sdwa v12, v24, v8 dst_sel:DWORD dst_unused:UNUSED_PAD src0_sel:WORD_1 src1_sel:DWORD
	v_fma_f16 v10, v21, v10, -v15
	v_fmac_f16_e32 v7, v21, v22
	v_fma_f16 v8, v24, v8, -v11
	s_waitcnt vmcnt(16)
	v_lshrrev_b32_e32 v11, 16, v26
	ds_write2_b32 v37, v6, v9 offset0:108 offset1:199
	v_fmac_f16_e32 v12, v24, v23
	s_waitcnt vmcnt(15)
	v_lshrrev_b32_e32 v9, 16, v4
	v_mul_f16_sdwa v13, v25, v26 dst_sel:DWORD dst_unused:UNUSED_PAD src0_sel:WORD_1 src1_sel:DWORD
	v_pack_b32_f16 v6, v7, v10
	v_mul_f16_sdwa v7, v25, v11 dst_sel:DWORD dst_unused:UNUSED_PAD src0_sel:WORD_1 src1_sel:DWORD
	s_waitcnt vmcnt(14)
	v_mul_f16_sdwa v10, v5, v4 dst_sel:DWORD dst_unused:UNUSED_PAD src0_sel:WORD_1 src1_sel:DWORD
	v_pack_b32_f16 v8, v12, v8
	v_mul_f16_sdwa v12, v5, v9 dst_sel:DWORD dst_unused:UNUSED_PAD src0_sel:WORD_1 src1_sel:DWORD
	v_fma_f16 v11, v25, v11, -v13
	v_fmac_f16_e32 v7, v25, v26
	v_fma_f16 v9, v5, v9, -v10
	s_waitcnt vmcnt(11)
	v_lshrrev_b32_e32 v10, 16, v29
	v_mul_f16_sdwa v13, v27, v29 dst_sel:DWORD dst_unused:UNUSED_PAD src0_sel:WORD_1 src1_sel:DWORD
	v_fmac_f16_e32 v12, v5, v4
	s_waitcnt vmcnt(8)
	v_lshrrev_b32_e32 v5, 16, v32
	ds_write2_b32 v38, v6, v8 offset0:34 offset1:125
	v_pack_b32_f16 v6, v7, v11
	v_mul_f16_sdwa v4, v27, v10 dst_sel:DWORD dst_unused:UNUSED_PAD src0_sel:WORD_1 src1_sel:DWORD
	v_fma_f16 v7, v27, v10, -v13
	v_mul_f16_sdwa v8, v28, v32 dst_sel:DWORD dst_unused:UNUSED_PAD src0_sel:WORD_1 src1_sel:DWORD
	v_mul_f16_sdwa v10, v28, v5 dst_sel:DWORD dst_unused:UNUSED_PAD src0_sel:WORD_1 src1_sel:DWORD
	v_pack_b32_f16 v9, v12, v9
	v_fmac_f16_e32 v4, v27, v29
	s_waitcnt vmcnt(7)
	v_lshrrev_b32_e32 v11, 16, v33
	v_fma_f16 v5, v28, v5, -v8
	v_mul_f16_sdwa v8, v30, v33 dst_sel:DWORD dst_unused:UNUSED_PAD src0_sel:WORD_1 src1_sel:DWORD
	v_fmac_f16_e32 v10, v28, v32
	s_waitcnt vmcnt(6)
	v_lshrrev_b32_e32 v12, 16, v34
	v_pack_b32_f16 v4, v4, v7
	v_mul_f16_sdwa v7, v30, v11 dst_sel:DWORD dst_unused:UNUSED_PAD src0_sel:WORD_1 src1_sel:DWORD
	v_fma_f16 v8, v30, v11, -v8
	v_mul_f16_sdwa v11, v31, v34 dst_sel:DWORD dst_unused:UNUSED_PAD src0_sel:WORD_1 src1_sel:DWORD
	v_pack_b32_f16 v5, v10, v5
	v_mul_f16_sdwa v10, v31, v12 dst_sel:DWORD dst_unused:UNUSED_PAD src0_sel:WORD_1 src1_sel:DWORD
	v_fmac_f16_e32 v7, v30, v33
	s_waitcnt vmcnt(5)
	v_lshrrev_b32_e32 v13, 16, v35
	v_fma_f16 v11, v31, v12, -v11
	s_waitcnt vmcnt(4)
	v_mul_f16_sdwa v12, v36, v35 dst_sel:DWORD dst_unused:UNUSED_PAD src0_sel:WORD_1 src1_sel:DWORD
	v_fmac_f16_e32 v10, v31, v34
	s_waitcnt vmcnt(3)
	v_lshrrev_b32_e32 v14, 16, v0
	s_waitcnt vmcnt(2)
	v_lshrrev_b32_e32 v15, 16, v1
	v_pack_b32_f16 v7, v7, v8
	v_mul_f16_sdwa v8, v36, v13 dst_sel:DWORD dst_unused:UNUSED_PAD src0_sel:WORD_1 src1_sel:DWORD
	v_fma_f16 v12, v36, v13, -v12
	s_waitcnt vmcnt(1)
	v_mul_f16_sdwa v13, v2, v0 dst_sel:DWORD dst_unused:UNUSED_PAD src0_sel:WORD_1 src1_sel:DWORD
	v_pack_b32_f16 v10, v10, v11
	v_mul_f16_sdwa v11, v2, v14 dst_sel:DWORD dst_unused:UNUSED_PAD src0_sel:WORD_1 src1_sel:DWORD
	s_waitcnt vmcnt(0)
	v_mul_f16_sdwa v16, v3, v15 dst_sel:DWORD dst_unused:UNUSED_PAD src0_sel:WORD_1 src1_sel:DWORD
	v_mul_f16_sdwa v17, v3, v1 dst_sel:DWORD dst_unused:UNUSED_PAD src0_sel:WORD_1 src1_sel:DWORD
	v_fmac_f16_e32 v8, v36, v35
	v_fma_f16 v13, v2, v14, -v13
	v_fmac_f16_e32 v11, v2, v0
	v_fmac_f16_e32 v16, v3, v1
	v_fma_f16 v0, v3, v15, -v17
	v_add_nc_u32_e32 v1, 0x1000, v47
	v_pack_b32_f16 v2, v8, v12
	v_pack_b32_f16 v3, v11, v13
	v_add_nc_u32_e32 v8, 0x1200, v47
	v_pack_b32_f16 v0, v16, v0
	ds_write2_b32 v39, v6, v9 offset0:88 offset1:179
	ds_write2_b32 v43, v4, v5 offset0:142 offset1:233
	;; [unrolled: 1-line block ×4, first 2 shown]
	ds_write_b32 v47, v0 offset:5824
.LBB0_3:
	s_or_b32 exec_lo, exec_lo, s1
	s_waitcnt lgkmcnt(0)
	s_barrier
	buffer_gl0_inv
                                        ; implicit-def: $vgpr0
                                        ; implicit-def: $vgpr6
                                        ; implicit-def: $vgpr31
                                        ; implicit-def: $vgpr4
                                        ; implicit-def: $vgpr30
                                        ; implicit-def: $vgpr29
                                        ; implicit-def: $vgpr2
                                        ; implicit-def: $vgpr26
                                        ; implicit-def: $vgpr25
                                        ; implicit-def: $vgpr23
                                        ; implicit-def: $vgpr24
                                        ; implicit-def: $vgpr32
                                        ; implicit-def: $vgpr9
                                        ; implicit-def: $vgpr33
                                        ; implicit-def: $vgpr34
                                        ; implicit-def: $vgpr11
                                        ; implicit-def: $vgpr35
                                        ; implicit-def: $vgpr36
                                        ; implicit-def: $vgpr13
                                        ; implicit-def: $vgpr37
                                        ; implicit-def: $vgpr38
                                        ; implicit-def: $vgpr15
                                        ; implicit-def: $vgpr39
                                        ; implicit-def: $vgpr40
                                        ; implicit-def: $vgpr41
	s_and_saveexec_b32 s0, vcc_lo
	s_cbranch_execz .LBB0_5
; %bb.4:
	v_add_nc_u32_e32 v2, 0x200, v47
	v_add_nc_u32_e32 v3, 0x400, v47
	;; [unrolled: 1-line block ×3, first 2 shown]
	ds_read2_b32 v[0:1], v47 offset1:91
	ds_read2_b32 v[14:15], v2 offset0:54 offset1:145
	v_add_nc_u32_e32 v2, 0xa00, v47
	ds_read2_b32 v[12:13], v3 offset0:108 offset1:199
	v_add_nc_u32_e32 v3, 0xc00, v47
	;; [unrolled: 2-line block ×4, first 2 shown]
	ds_read2_b32 v[6:7], v3 offset0:142 offset1:233
	ds_read2_b32 v[4:5], v4 offset0:68 offset1:159
	;; [unrolled: 1-line block ×3, first 2 shown]
	ds_read_b32 v23, v47 offset:5824
	s_waitcnt lgkmcnt(8)
	v_lshrrev_b32_e32 v41, 16, v1
	s_waitcnt lgkmcnt(7)
	v_lshrrev_b32_e32 v40, 16, v14
	v_lshrrev_b32_e32 v39, 16, v15
	s_waitcnt lgkmcnt(6)
	v_lshrrev_b32_e32 v38, 16, v12
	v_lshrrev_b32_e32 v37, 16, v13
	s_waitcnt lgkmcnt(5)
	v_lshrrev_b32_e32 v36, 16, v10
	v_lshrrev_b32_e32 v35, 16, v11
	s_waitcnt lgkmcnt(4)
	v_lshrrev_b32_e32 v34, 16, v8
	v_lshrrev_b32_e32 v33, 16, v9
	s_waitcnt lgkmcnt(3)
	v_lshrrev_b32_e32 v31, 16, v6
	v_lshrrev_b32_e32 v32, 16, v7
	s_waitcnt lgkmcnt(2)
	v_lshrrev_b32_e32 v30, 16, v4
	v_lshrrev_b32_e32 v29, 16, v5
	s_waitcnt lgkmcnt(1)
	v_lshrrev_b32_e32 v26, 16, v2
	v_lshrrev_b32_e32 v25, 16, v3
	s_waitcnt lgkmcnt(0)
	v_lshrrev_b32_e32 v24, 16, v23
.LBB0_5:
	s_or_b32 exec_lo, exec_lo, s0
	v_sub_f16_e32 v49, v41, v24
	v_add_f16_e32 v63, v23, v1
	v_sub_f16_e32 v53, v40, v25
	v_add_f16_e32 v61, v3, v14
	v_sub_f16_e32 v50, v39, v26
	v_mul_f16_e32 v42, 0xb964, v49
	v_mul_f16_e32 v54, 0xbb29, v49
	;; [unrolled: 1-line block ×4, first 2 shown]
	v_add_f16_e32 v62, v2, v15
	v_fmamk_f16 v16, v63, 0x39e9, v42
	v_fmamk_f16 v17, v63, 0x3722, v54
	v_mul_f16_e32 v43, 0xba62, v50
	v_fmamk_f16 v18, v61, 0x2de8, v44
	v_sub_f16_e32 v51, v38, v29
	v_add_f16_e32 v16, v16, v0
	v_fmamk_f16 v19, v61, 0xb8d2, v46
	v_add_f16_e32 v17, v17, v0
	v_mul_f16_e32 v55, 0x31e1, v50
	v_add_f16_e32 v64, v5, v12
	v_fmamk_f16 v21, v62, 0xb8d2, v43
	v_add_f16_e32 v16, v18, v16
	v_sub_f16_e32 v52, v37, v30
	v_mul_f16_e32 v56, 0xb1e1, v51
	v_add_f16_e32 v17, v19, v17
	v_fmamk_f16 v18, v62, 0xbbdd, v55
	v_mul_f16_e32 v59, 0x3bb2, v51
	v_add_f16_e32 v16, v21, v16
	v_fmamk_f16 v19, v64, 0xbbdd, v56
	v_add_f16_e32 v68, v4, v13
	v_mul_f16_e32 v45, 0x3836, v52
	v_add_f16_e32 v17, v18, v17
	v_fmamk_f16 v18, v64, 0xb461, v59
	v_mul_f16_e32 v58, 0x3964, v52
	v_sub_f16_e32 v71, v36, v32
	v_add_f16_e32 v16, v19, v16
	v_fmamk_f16 v19, v68, 0xbacd, v45
	v_add_f16_e32 v17, v18, v17
	v_fmamk_f16 v18, v68, 0x39e9, v58
	v_add_f16_e32 v69, v7, v10
	v_mul_f16_e32 v57, 0x3bb2, v71
	v_sub_f16_e32 v73, v35, v31
	v_mul_f16_e32 v65, 0xb5c8, v71
	v_add_f16_e32 v16, v19, v16
	v_add_f16_e32 v17, v18, v17
	v_fmamk_f16 v18, v69, 0xb461, v57
	v_add_f16_e32 v72, v6, v11
	v_mul_f16_e32 v60, 0x3b29, v73
	v_fmamk_f16 v19, v69, 0x3b76, v65
	v_mul_f16_e32 v66, 0xbbf7, v73
	v_add_f16_e32 v16, v18, v16
	v_mul_f16_e32 v85, 0xbbb2, v49
	v_fmamk_f16 v18, v72, 0x3722, v60
	v_add_f16_e32 v17, v19, v17
	v_fmamk_f16 v19, v72, 0x2de8, v66
	v_mul_f16_e32 v97, 0xba62, v49
	v_mul_f16_e32 v87, 0x3836, v53
	v_add_f16_e32 v16, v18, v16
	v_fmamk_f16 v18, v63, 0xb461, v85
	v_add_f16_e32 v17, v19, v17
	v_fmamk_f16 v19, v63, 0xb8d2, v97
	v_mul_f16_e32 v99, 0x3bb2, v53
	v_sub_f16_e32 v76, v34, v33
	v_add_f16_e32 v18, v18, v0
	v_fmamk_f16 v21, v61, 0xbacd, v87
	v_add_f16_e32 v19, v19, v0
	v_fmamk_f16 v22, v61, 0xb461, v99
	v_mul_f16_e32 v88, 0x3964, v50
	v_mul_f16_e32 v100, 0xb5c8, v50
	v_add_f16_e32 v74, v9, v8
	v_mul_f16_e32 v67, 0x35c8, v76
	v_add_f16_e32 v18, v21, v18
	v_add_f16_e32 v19, v22, v19
	v_fmamk_f16 v21, v62, 0x39e9, v88
	v_fmamk_f16 v22, v62, 0x3b76, v100
	v_mul_f16_e32 v90, 0xbb29, v51
	v_mul_f16_e32 v101, 0xb836, v51
	v_fmamk_f16 v27, v74, 0x3b76, v67
	v_add_f16_e32 v18, v21, v18
	v_add_f16_e32 v19, v22, v19
	v_fmamk_f16 v21, v64, 0x3722, v90
	v_fmamk_f16 v28, v64, 0xbacd, v101
	v_mul_f16_e32 v91, 0xb1e1, v52
	v_mul_f16_e32 v95, 0x3bf7, v52
	v_add_f16_e32 v22, v27, v16
	v_add_f16_e32 v16, v21, v18
	;; [unrolled: 1-line block ×3, first 2 shown]
	v_fmamk_f16 v19, v68, 0xbbdd, v91
	v_fmamk_f16 v21, v68, 0x2de8, v95
	v_mul_f16_e32 v86, 0x3bf7, v71
	v_mul_f16_e32 v96, 0xb964, v71
	;; [unrolled: 1-line block ×3, first 2 shown]
	v_add_f16_e32 v16, v19, v16
	v_add_f16_e32 v18, v21, v18
	v_fmamk_f16 v19, v69, 0x2de8, v86
	v_fmamk_f16 v21, v69, 0x39e9, v96
	v_mul_f16_e32 v89, 0xb5c8, v73
	v_mul_f16_e32 v98, 0xb1e1, v73
	v_fmamk_f16 v27, v74, 0xbacd, v70
	v_add_f16_e32 v16, v19, v16
	v_add_f16_e32 v18, v21, v18
	v_fmamk_f16 v19, v72, 0x3b76, v89
	v_fmamk_f16 v28, v72, 0xbbdd, v98
	v_mul_f16_e32 v75, 0xb836, v49
	v_add_f16_e32 v21, v27, v17
	v_mul_f16_e32 v27, 0xb1e1, v49
	v_add_f16_e32 v16, v19, v16
	v_add_f16_e32 v18, v28, v18
	v_fma_f16 v17, v63, 0xbacd, -v75
	v_mul_f16_e32 v19, 0x3b29, v53
	v_fma_f16 v28, v63, 0xbbdd, -v27
	v_mul_f16_e32 v77, 0x35c8, v53
	v_mul_f16_e32 v92, 0xba62, v76
	v_add_f16_e32 v17, v17, v0
	v_fma_f16 v78, v61, 0x3722, -v19
	v_add_f16_e32 v28, v28, v0
	v_fma_f16 v79, v61, 0x3b76, -v77
	v_mul_f16_e32 v80, 0xbbf7, v50
	v_mul_f16_e32 v81, 0xb836, v50
	v_fmamk_f16 v82, v74, 0xb8d2, v92
	v_add_f16_e32 v78, v78, v17
	v_add_f16_e32 v28, v79, v28
	v_fma_f16 v79, v62, 0x2de8, -v80
	v_fma_f16 v83, v62, 0xbacd, -v81
	v_mul_f16_e32 v84, 0x3a62, v51
	v_add_f16_e32 v17, v82, v16
	v_mul_f16_e32 v16, 0x3964, v51
	v_fmac_f16_e32 v75, 0xbacd, v63
	v_add_f16_e32 v78, v79, v78
	v_add_f16_e32 v28, v83, v28
	v_fma_f16 v79, v64, 0xb8d2, -v84
	v_mul_f16_e32 v82, 0xb5c8, v52
	v_fma_f16 v83, v64, 0x39e9, -v16
	v_mul_f16_e32 v93, 0xba62, v52
	v_fmac_f16_e32 v27, 0xbbdd, v63
	v_add_f16_e32 v75, v75, v0
	v_fmac_f16_e32 v19, 0x3722, v61
	v_add_f16_e32 v78, v79, v78
	v_fma_f16 v79, v68, 0x3b76, -v82
	v_add_f16_e32 v28, v83, v28
	v_fma_f16 v83, v68, 0xb8d2, -v93
	v_add_f16_e32 v27, v27, v0
	v_fmac_f16_e32 v77, 0x3b76, v61
	v_mul_f16_e32 v102, 0x3b29, v71
	v_add_f16_e32 v19, v19, v75
	v_fmac_f16_e32 v80, 0x2de8, v62
	v_add_f16_e32 v78, v79, v78
	v_add_f16_e32 v28, v83, v28
	v_mul_f16_e32 v79, 0xb1e1, v71
	v_add_f16_e32 v27, v77, v27
	v_fmac_f16_e32 v81, 0xbacd, v62
	v_fma_f16 v77, v69, 0x3722, -v102
	v_add_f16_e32 v19, v80, v19
	v_fmac_f16_e32 v84, 0xb8d2, v64
	v_fma_f16 v83, v69, 0xbbdd, -v79
	v_mul_f16_e32 v103, 0x3964, v73
	v_add_f16_e32 v27, v81, v27
	v_fmac_f16_e32 v16, 0x39e9, v64
	v_add_f16_e32 v28, v77, v28
	v_mul_f16_e32 v77, 0xbbb2, v73
	v_add_f16_e32 v19, v84, v19
	v_fmac_f16_e32 v82, 0x3b76, v68
	v_add_f16_e32 v75, v83, v78
	v_fma_f16 v78, v72, 0x39e9, -v103
	v_add_f16_e32 v16, v16, v27
	v_fma_f16 v27, v72, 0xb461, -v77
	v_mul_f16_e32 v81, 0x3bf7, v76
	v_add_f16_e32 v19, v82, v19
	v_fmac_f16_e32 v79, 0xbbdd, v69
	v_mul_f16_e32 v106, 0x3b29, v76
	v_add_f16_e32 v75, v78, v75
	v_fmac_f16_e32 v93, 0xb8d2, v68
	v_mul_f16_e32 v78, 0xbbb2, v76
	v_add_f16_e32 v27, v27, v28
	v_fma_f16 v80, v74, 0x2de8, -v81
	v_add_f16_e32 v79, v79, v19
	v_fmac_f16_e32 v103, 0x39e9, v72
	v_fmamk_f16 v94, v74, 0x3722, v106
	v_add_f16_e32 v16, v93, v16
	v_fmac_f16_e32 v102, 0x3722, v69
	v_fma_f16 v28, v74, 0xb461, -v78
	v_add_f16_e32 v19, v80, v27
	v_add_f16_e32 v27, v103, v79
	v_sub_f16_e32 v83, v1, v23
	v_fmac_f16_e32 v78, 0xb461, v74
	v_add_f16_e32 v82, v102, v16
	v_fmac_f16_e32 v77, 0xb461, v72
	v_add_f16_e32 v16, v94, v18
	v_add_f16_e32 v18, v28, v75
	v_mul_f16_e32 v75, 0xb5c8, v49
	v_add_f16_e32 v145, v24, v41
	v_mul_f16_e32 v79, 0xb5c8, v83
	v_add_f16_e32 v28, v78, v27
	v_sub_f16_e32 v78, v14, v3
	v_add_f16_e32 v82, v77, v82
	v_fmac_f16_e32 v81, 0x2de8, v74
	v_fmamk_f16 v27, v63, 0x3b76, v75
	v_fma_f16 v84, v145, 0x3b76, -v79
	v_add_f16_e32 v133, v25, v40
	v_mul_f16_e32 v80, 0xb964, v78
	v_mul_f16_e32 v103, 0xb964, v83
	;; [unrolled: 1-line block ×3, first 2 shown]
	v_add_f16_e32 v93, v27, v0
	v_add_f16_sdwa v84, v84, v0 dst_sel:DWORD dst_unused:UNUSED_PAD src0_sel:DWORD src1_sel:WORD_1
	v_fma_f16 v102, v133, 0x39e9, -v80
	v_add_f16_e32 v27, v81, v82
	v_fma_f16 v82, v145, 0x39e9, -v103
	v_mul_f16_e32 v108, 0xbb29, v83
	v_fmamk_f16 v94, v61, 0x39e9, v77
	v_add_f16_e32 v84, v102, v84
	v_mul_f16_e32 v102, 0xbbf7, v78
	v_mul_f16_e32 v113, 0xbbf7, v49
	v_add_f16_sdwa v49, v82, v0 dst_sel:DWORD dst_unused:UNUSED_PAD src0_sel:DWORD src1_sel:WORD_1
	v_fma_f16 v82, v145, 0x3722, -v108
	v_mul_f16_e32 v110, 0xba62, v78
	v_add_f16_e32 v81, v94, v93
	v_fma_f16 v93, v133, 0x2de8, -v102
	v_fmamk_f16 v94, v63, 0x2de8, v113
	v_mul_f16_e32 v112, 0xb1e1, v53
	v_add_f16_sdwa v53, v82, v0 dst_sel:DWORD dst_unused:UNUSED_PAD src0_sel:DWORD src1_sel:WORD_1
	v_fma_f16 v82, v133, 0xb8d2, -v110
	v_mul_f16_e32 v117, 0xbbf7, v83
	v_mul_f16_e32 v131, 0xbbb2, v83
	v_add_f16_e32 v94, v94, v0
	v_fmamk_f16 v104, v61, 0xbbdd, v112
	v_add_f16_e32 v49, v93, v49
	v_add_f16_e32 v53, v82, v53
	v_fma_f16 v82, v145, 0x2de8, -v117
	v_mul_f16_e32 v118, 0xb1e1, v78
	v_fma_f16 v93, v145, 0xb461, -v131
	v_mul_f16_e32 v132, 0x3836, v78
	v_add_f16_e32 v104, v104, v94
	v_mul_f16_e32 v142, 0xba62, v83
	v_add_f16_sdwa v82, v82, v0 dst_sel:DWORD dst_unused:UNUSED_PAD src0_sel:DWORD src1_sel:WORD_1
	v_fma_f16 v94, v133, 0xbbdd, -v118
	v_add_f16_sdwa v93, v93, v0 dst_sel:DWORD dst_unused:UNUSED_PAD src0_sel:DWORD src1_sel:WORD_1
	v_fma_f16 v107, v133, 0xbacd, -v132
	v_mul_f16_e32 v109, 0xb836, v83
	v_fma_f16 v105, v145, 0xb8d2, -v142
	v_mul_f16_e32 v143, 0x3bb2, v78
	v_add_f16_e32 v82, v94, v82
	v_add_f16_e32 v107, v107, v93
	v_fmamk_f16 v93, v145, 0xbacd, v109
	v_mul_f16_e32 v94, 0x3b29, v78
	v_add_f16_sdwa v105, v105, v0 dst_sel:DWORD dst_unused:UNUSED_PAD src0_sel:DWORD src1_sel:WORD_1
	v_fma_f16 v111, v133, 0xb461, -v143
	v_mul_f16_e32 v83, 0xb1e1, v83
	v_fma_f16 v109, v145, 0xbacd, -v109
	v_add_f16_sdwa v93, v93, v0 dst_sel:DWORD dst_unused:UNUSED_PAD src0_sel:DWORD src1_sel:WORD_1
	v_fmamk_f16 v114, v133, 0x3722, v94
	v_add_f16_e32 v105, v111, v105
	v_fmamk_f16 v111, v145, 0xbbdd, v83
	v_mul_f16_e32 v78, 0x35c8, v78
	v_add_f16_sdwa v109, v109, v0 dst_sel:DWORD dst_unused:UNUSED_PAD src0_sel:DWORD src1_sel:WORD_1
	v_fma_f16 v94, v133, 0x3722, -v94
	v_add_f16_e32 v114, v114, v93
	v_fma_f16 v83, v145, 0xbbdd, -v83
	v_mul_f16_e32 v93, 0xbb29, v50
	v_sub_f16_e32 v116, v15, v2
	v_add_f16_sdwa v111, v111, v0 dst_sel:DWORD dst_unused:UNUSED_PAD src0_sel:DWORD src1_sel:WORD_1
	v_fmamk_f16 v115, v133, 0x3b76, v78
	v_add_f16_e32 v109, v94, v109
	v_add_f16_sdwa v83, v83, v0 dst_sel:DWORD dst_unused:UNUSED_PAD src0_sel:DWORD src1_sel:WORD_1
	v_fma_f16 v78, v133, 0x3b76, -v78
	v_fmamk_f16 v120, v62, 0x3722, v93
	v_add_f16_e32 v144, v26, v39
	v_mul_f16_e32 v94, 0xbb29, v116
	v_mul_f16_e32 v119, 0x31e1, v116
	v_add_f16_e32 v115, v115, v111
	v_mul_f16_e32 v111, 0xba62, v116
	v_add_f16_e32 v78, v78, v83
	v_add_f16_e32 v81, v120, v81
	v_fma_f16 v83, v144, 0x3722, -v94
	v_mul_f16_e32 v120, 0x3bb2, v50
	v_fma_f16 v50, v144, 0xbbdd, -v119
	v_mul_f16_e32 v126, 0x3bb2, v116
	v_fma_f16 v121, v144, 0xb8d2, -v111
	v_add_f16_e32 v83, v83, v84
	v_fmamk_f16 v84, v62, 0xb461, v120
	v_add_f16_e32 v50, v50, v53
	v_fma_f16 v53, v144, 0xb461, -v126
	v_mul_f16_e32 v139, 0x3964, v116
	v_mul_f16_e32 v151, 0xb5c8, v116
	v_add_f16_e32 v49, v121, v49
	v_add_f16_e32 v84, v84, v104
	v_mul_f16_e32 v104, 0xbbf7, v116
	v_add_f16_e32 v53, v53, v82
	v_fma_f16 v82, v144, 0x39e9, -v139
	v_fma_f16 v121, v144, 0x3b76, -v151
	v_mul_f16_e32 v116, 0xb836, v116
	v_fmamk_f16 v122, v144, 0x2de8, v104
	v_fma_f16 v104, v144, 0x2de8, -v104
	v_add_f16_e32 v82, v82, v107
	v_add_f16_e32 v107, v121, v105
	v_fmamk_f16 v105, v144, 0xbacd, v116
	v_sub_f16_e32 v121, v12, v5
	v_add_f16_e32 v114, v122, v114
	v_add_f16_e32 v109, v104, v109
	v_mul_f16_e32 v104, 0xbbf7, v51
	v_add_f16_e32 v115, v105, v115
	v_fma_f16 v122, v144, 0xbacd, -v116
	v_add_f16_e32 v147, v29, v38
	v_mul_f16_e32 v105, 0xbbf7, v121
	v_mul_f16_e32 v125, 0x3bb2, v121
	v_fmamk_f16 v123, v64, 0x2de8, v104
	v_mul_f16_e32 v116, 0xb1e1, v121
	v_add_f16_e32 v78, v122, v78
	v_fma_f16 v122, v147, 0x2de8, -v105
	v_mul_f16_e32 v127, 0x35c8, v51
	v_fma_f16 v51, v147, 0xb461, -v125
	v_mul_f16_e32 v135, 0x35c8, v121
	v_add_f16_e32 v81, v123, v81
	v_fma_f16 v123, v147, 0xbbdd, -v116
	v_add_f16_e32 v83, v122, v83
	v_fmamk_f16 v122, v64, 0x3b76, v127
	v_add_f16_e32 v50, v51, v50
	v_mul_f16_e32 v148, 0xbb29, v121
	v_fma_f16 v51, v147, 0x3b76, -v135
	v_mul_f16_e32 v159, 0xb836, v121
	v_add_f16_e32 v49, v123, v49
	v_add_f16_e32 v84, v122, v84
	v_mul_f16_e32 v122, 0x3a62, v121
	v_fma_f16 v123, v147, 0x3722, -v148
	v_add_f16_e32 v51, v51, v53
	v_fma_f16 v53, v147, 0xbacd, -v159
	v_mul_f16_e32 v121, 0x3964, v121
	v_fmamk_f16 v124, v147, 0xb8d2, v122
	v_add_f16_e32 v82, v123, v82
	v_fma_f16 v122, v147, 0xb8d2, -v122
	v_add_f16_e32 v53, v53, v107
	v_fmamk_f16 v123, v147, 0x39e9, v121
	v_mul_f16_e32 v107, 0xbbb2, v52
	v_sub_f16_e32 v128, v13, v4
	v_add_f16_e32 v114, v124, v114
	v_add_f16_e32 v122, v122, v109
	;; [unrolled: 1-line block ×3, first 2 shown]
	v_fma_f16 v121, v147, 0x39e9, -v121
	v_fmamk_f16 v123, v68, 0xb461, v107
	v_add_f16_e32 v152, v30, v37
	v_mul_f16_e32 v109, 0xbbb2, v128
	v_mul_f16_e32 v124, 0x3836, v128
	;; [unrolled: 1-line block ×3, first 2 shown]
	v_add_f16_e32 v78, v121, v78
	v_add_f16_e32 v81, v123, v81
	v_fma_f16 v121, v152, 0xb461, -v109
	v_fma_f16 v123, v152, 0xbacd, -v124
	v_mul_f16_e32 v136, 0xbb29, v52
	v_fma_f16 v129, v152, 0x39e9, -v134
	v_mul_f16_e32 v153, 0xb1e1, v128
	v_add_f16_e32 v52, v121, v83
	v_add_f16_e32 v49, v123, v49
	v_fmamk_f16 v83, v68, 0x3722, v136
	v_mul_f16_e32 v123, 0xb5c8, v128
	v_mul_f16_e32 v138, 0xbb29, v128
	v_add_f16_e32 v50, v129, v50
	v_mul_f16_e32 v164, 0x3bf7, v128
	v_add_f16_e32 v83, v83, v84
	v_fma_f16 v84, v152, 0xbbdd, -v153
	v_fmamk_f16 v129, v152, 0x3b76, v123
	v_mul_f16_e32 v128, 0xba62, v128
	v_fma_f16 v123, v152, 0x3b76, -v123
	v_fma_f16 v121, v152, 0x3722, -v138
	v_add_f16_e32 v82, v84, v82
	v_add_f16_e32 v84, v129, v114
	v_sub_f16_e32 v129, v10, v7
	v_add_f16_e32 v122, v123, v122
	v_fma_f16 v123, v152, 0xb8d2, -v128
	v_add_f16_e32 v51, v121, v51
	v_fma_f16 v121, v152, 0x2de8, -v164
	v_mul_f16_e32 v114, 0xba62, v71
	v_add_f16_e32 v156, v32, v36
	v_add_f16_e32 v78, v123, v78
	v_mul_f16_e32 v123, 0x3bb2, v129
	v_add_f16_e32 v53, v121, v53
	v_fmamk_f16 v121, v152, 0xb8d2, v128
	v_fmamk_f16 v128, v69, 0xb8d2, v114
	v_mul_f16_e32 v140, 0xb5c8, v129
	v_mul_f16_e32 v141, 0xb836, v71
	v_fma_f16 v71, v156, 0xb461, -v123
	v_mul_f16_e32 v146, 0xb836, v129
	v_add_f16_e32 v121, v121, v115
	v_mul_f16_e32 v115, 0xba62, v129
	v_add_f16_e32 v81, v128, v81
	v_fma_f16 v128, v156, 0x3b76, -v140
	v_add_f16_e32 v49, v71, v49
	v_fma_f16 v71, v156, 0xbacd, -v146
	v_mul_f16_e32 v166, 0xb964, v129
	v_fma_f16 v130, v156, 0xb8d2, -v115
	v_add_f16_e32 v50, v128, v50
	v_mul_f16_e32 v158, 0x3bf7, v129
	v_mul_f16_e32 v128, 0xb1e1, v129
	v_add_f16_e32 v51, v71, v51
	v_mul_f16_e32 v71, 0x3b29, v129
	v_fma_f16 v129, v156, 0x39e9, -v166
	v_add_f16_e32 v52, v130, v52
	v_fmamk_f16 v130, v69, 0xbacd, v141
	v_fmamk_f16 v137, v156, 0xbbdd, v128
	v_fma_f16 v128, v156, 0xbbdd, -v128
	v_add_f16_e32 v53, v129, v53
	v_sub_f16_e32 v129, v11, v6
	v_add_f16_e32 v83, v130, v83
	v_fma_f16 v130, v156, 0x2de8, -v158
	v_add_f16_e32 v84, v137, v84
	v_add_f16_e32 v137, v128, v122
	v_add_f16_e32 v161, v31, v35
	v_mul_f16_e32 v122, 0xb836, v129
	v_add_f16_e32 v82, v130, v82
	v_fmamk_f16 v130, v156, 0x3722, v71
	v_mul_f16_e32 v149, 0xbbf7, v129
	v_fma_f16 v71, v156, 0x3722, -v71
	v_fma_f16 v150, v161, 0xbacd, -v122
	v_mul_f16_e32 v167, 0xb1e1, v129
	v_add_f16_e32 v155, v130, v121
	v_mul_f16_e32 v121, 0xb836, v73
	v_mul_f16_e32 v130, 0x3b29, v129
	v_fma_f16 v154, v161, 0x2de8, -v149
	v_add_f16_e32 v52, v150, v52
	v_mul_f16_e32 v150, 0x3a62, v73
	v_fmamk_f16 v128, v72, 0xbacd, v121
	v_add_f16_e32 v71, v71, v78
	v_fma_f16 v78, v161, 0x3722, -v130
	v_add_f16_e32 v73, v154, v50
	v_mul_f16_e32 v154, 0x3a62, v129
	v_fmamk_f16 v50, v72, 0xb8d2, v150
	v_add_f16_e32 v81, v128, v81
	v_add_f16_e32 v49, v78, v49
	v_mul_f16_e32 v78, 0x3964, v129
	v_fma_f16 v128, v161, 0xb8d2, -v154
	v_add_f16_e32 v83, v50, v83
	v_fma_f16 v50, v161, 0xbbdd, -v167
	v_mul_f16_e32 v162, 0xb5c8, v129
	v_fmamk_f16 v160, v161, 0x39e9, v78
	v_add_f16_e32 v169, v128, v51
	v_mul_f16_e32 v51, 0xbbb2, v129
	v_add_f16_e32 v170, v50, v53
	v_fma_f16 v50, v161, 0x39e9, -v78
	v_sub_f16_e32 v78, v8, v9
	v_add_f16_e32 v163, v33, v34
	v_fmamk_f16 v53, v161, 0xb461, v51
	v_fma_f16 v51, v161, 0xb461, -v51
	v_fma_f16 v157, v161, 0x3b76, -v162
	v_mul_f16_e32 v129, 0xb1e1, v78
	v_add_f16_e32 v171, v50, v137
	v_mul_f16_e32 v137, 0x35c8, v78
	v_add_f16_e32 v173, v51, v71
	v_add_f16_e32 v82, v157, v82
	v_fma_f16 v51, v163, 0xbbdd, -v129
	v_add_f16_e32 v84, v160, v84
	v_mul_f16_e32 v128, 0xb1e1, v76
	v_add_f16_e32 v172, v53, v155
	v_mul_f16_e32 v155, 0xb836, v78
	v_mul_f16_e32 v157, 0x3964, v76
	v_add_f16_e32 v51, v51, v52
	v_fma_f16 v52, v163, 0x3b76, -v137
	v_mul_f16_e32 v160, 0x3964, v78
	v_fmamk_f16 v50, v74, 0xbbdd, v128
	v_fma_f16 v53, v163, 0xbacd, -v155
	v_fmamk_f16 v71, v74, 0x39e9, v157
	v_mul_f16_e32 v165, 0xba62, v78
	v_add_f16_e32 v52, v52, v49
	v_fma_f16 v49, v163, 0x39e9, -v160
	s_clause 0x1
	s_load_dwordx2 s[6:7], s[4:5], 0x20
	s_load_dwordx2 s[2:3], s[4:5], 0x8
	v_add_f16_e32 v50, v50, v81
	v_add_f16_e32 v53, v53, v73
	;; [unrolled: 1-line block ×3, first 2 shown]
	v_fma_f16 v71, v163, 0xb8d2, -v165
	v_mul_f16_e32 v168, 0x3b29, v78
	v_mul_f16_e32 v81, 0xbbb2, v78
	v_add_f16_e32 v76, v49, v169
	v_mul_f16_e32 v49, 0x3bf7, v78
	v_add_f16_e32 v78, v71, v82
	v_fma_f16 v71, v163, 0x3722, -v168
	v_fmamk_f16 v82, v163, 0xb461, v81
	v_fma_f16 v83, v163, 0xb461, -v81
	v_fmamk_f16 v169, v163, 0x2de8, v49
	v_fma_f16 v49, v163, 0x2de8, -v49
	v_add_f16_e32 v81, v71, v170
	v_add_f16_e32 v71, v82, v84
	;; [unrolled: 1-line block ×5, first 2 shown]
	v_mul_lo_u16 v49, v48, 17
	s_waitcnt lgkmcnt(0)
	s_barrier
	buffer_gl0_inv
	s_and_saveexec_b32 s0, vcc_lo
	s_cbranch_execz .LBB0_7
; %bb.6:
	v_mul_f16_e32 v178, 0xb8d2, v145
	v_mul_f16_e32 v169, 0x3b76, v63
	;; [unrolled: 1-line block ×5, first 2 shown]
	v_add_f16_e32 v142, v142, v178
	v_mul_f16_e32 v178, 0xb461, v133
	v_mul_f16_e32 v177, 0xb461, v63
	v_mul_f16_e32 v63, 0xb8d2, v63
	v_mul_f16_e32 v179, 0x39e9, v61
	v_add_f16_sdwa v142, v142, v0 dst_sel:DWORD dst_unused:UNUSED_PAD src0_sel:DWORD src1_sel:WORD_1
	v_add_f16_e32 v143, v143, v178
	v_mul_f16_e32 v178, 0x3b76, v144
	v_mul_f16_e32 v181, 0x2de8, v61
	;; [unrolled: 1-line block ×4, first 2 shown]
	v_add_f16_e32 v142, v143, v142
	v_add_f16_e32 v143, v151, v178
	v_mul_f16_e32 v151, 0xbacd, v147
	v_mul_f16_e32 v178, 0xbacd, v61
	;; [unrolled: 1-line block ×3, first 2 shown]
	v_sub_f16_e32 v63, v63, v97
	v_add_f16_e32 v142, v143, v142
	v_add_f16_e32 v143, v159, v151
	v_mul_f16_e32 v151, 0x2de8, v152
	v_mul_f16_e32 v159, 0x3722, v62
	;; [unrolled: 1-line block ×4, first 2 shown]
	v_add_f16_e32 v142, v143, v142
	v_add_f16_e32 v143, v164, v151
	v_mul_f16_e32 v97, 0x39e9, v62
	v_sub_f16_e32 v61, v61, v99
	v_add_f16_e32 v63, v63, v0
	v_sub_f16_e32 v54, v173, v54
	v_add_f16_e32 v142, v143, v142
	v_mul_f16_e32 v143, 0xb461, v62
	v_mul_f16_e32 v62, 0x3b76, v62
	v_add_f16_e32 v61, v61, v63
	v_mul_f16_e32 v170, 0x3b76, v145
	v_mul_f16_e32 v172, 0x39e9, v145
	;; [unrolled: 1-line block ×3, first 2 shown]
	v_sub_f16_e32 v62, v62, v100
	v_mul_f16_e32 v100, 0xbacd, v64
	v_mul_f16_e32 v176, 0x2de8, v145
	;; [unrolled: 1-line block ×3, first 2 shown]
	v_add_f16_e32 v54, v54, v0
	v_add_f16_e32 v61, v62, v61
	v_sub_f16_e32 v62, v100, v101
	v_sub_f16_e32 v46, v183, v46
	v_mul_f16_e32 v180, 0x39e9, v133
	v_mul_f16_e32 v182, 0x2de8, v133
	;; [unrolled: 1-line block ×3, first 2 shown]
	v_add_f16_e32 v61, v62, v61
	v_mul_f16_e32 v62, 0x2de8, v68
	v_mul_f16_e32 v186, 0xbbdd, v133
	;; [unrolled: 1-line block ×5, first 2 shown]
	v_sub_f16_e32 v62, v62, v95
	v_mul_f16_e32 v95, 0x39e9, v69
	v_add_f16_e32 v131, v131, v145
	v_add_f16_e32 v46, v46, v54
	v_sub_f16_e32 v54, v189, v55
	v_add_f16_e32 v61, v62, v61
	v_sub_f16_e32 v95, v95, v96
	v_mul_f16_e32 v187, 0x3722, v144
	v_mul_f16_e32 v151, 0xb8d2, v144
	;; [unrolled: 1-line block ×3, first 2 shown]
	v_add_f16_e32 v164, v166, v164
	v_mul_f16_e32 v166, 0xb461, v144
	v_mul_f16_e32 v144, 0x39e9, v144
	;; [unrolled: 1-line block ×4, first 2 shown]
	v_add_f16_e32 v132, v132, v133
	v_add_f16_sdwa v131, v131, v0 dst_sel:DWORD dst_unused:UNUSED_PAD src0_sel:DWORD src1_sel:WORD_1
	v_add_f16_e32 v61, v95, v61
	v_mul_f16_e32 v95, 0x39e9, v68
	v_sub_f16_e32 v85, v177, v85
	v_mul_f16_e32 v177, 0x3722, v74
	v_add_f16_e32 v46, v54, v46
	v_sub_f16_e32 v54, v100, v59
	v_add_f16_e32 v59, v103, v172
	v_add_f16_e32 v142, v164, v142
	;; [unrolled: 1-line block ×3, first 2 shown]
	v_mul_f16_e32 v167, 0x2de8, v147
	v_add_f16_e32 v63, v168, v63
	v_mul_f16_e32 v168, 0xbbdd, v147
	v_mul_f16_e32 v101, 0xb461, v147
	;; [unrolled: 1-line block ×4, first 2 shown]
	v_add_f16_e32 v131, v132, v131
	v_mul_f16_e32 v132, 0xbbdd, v72
	v_add_f16_e32 v139, v139, v144
	v_sub_f16_e32 v106, v177, v106
	v_mul_f16_e32 v177, 0x3b76, v69
	v_sub_f16_e32 v42, v171, v42
	v_add_f16_e32 v46, v54, v46
	v_sub_f16_e32 v54, v95, v58
	v_add_f16_sdwa v58, v59, v0 dst_sel:DWORD dst_unused:UNUSED_PAD src0_sel:DWORD src1_sel:WORD_1
	v_add_f16_e32 v59, v102, v182
	v_add_f16_e32 v99, v99, v142
	v_mul_f16_e32 v62, 0xb461, v152
	v_mul_f16_e32 v144, 0xbacd, v152
	v_sub_f16_e32 v98, v132, v98
	v_mul_f16_e32 v132, 0x39e9, v152
	v_add_f16_e32 v131, v139, v131
	v_add_f16_e32 v147, v148, v147
	v_mul_f16_e32 v148, 0x3722, v152
	v_mul_f16_e32 v152, 0xbbdd, v152
	v_sub_f16_e32 v87, v178, v87
	v_add_f16_e32 v85, v85, v0
	v_add_f16_e32 v42, v42, v0
	v_sub_f16_e32 v44, v181, v44
	v_add_f16_e32 v46, v54, v46
	v_sub_f16_e32 v54, v177, v65
	v_add_f16_e32 v58, v59, v58
	v_add_f16_e32 v59, v111, v151
	v_mul_f16_e32 v164, 0x2de8, v64
	v_mul_f16_e32 v142, 0xbbdd, v64
	v_add_f16_e32 v63, v63, v99
	v_mul_f16_e32 v99, 0x3b76, v64
	v_mul_f16_e32 v64, 0x3722, v64
	v_add_f16_e32 v131, v147, v131
	v_add_f16_e32 v152, v153, v152
	;; [unrolled: 1-line block ×3, first 2 shown]
	v_mul_f16_e32 v87, 0x2de8, v156
	v_sub_f16_e32 v88, v97, v88
	v_add_f16_e32 v42, v44, v42
	v_sub_f16_e32 v43, v188, v43
	v_add_f16_e32 v44, v54, v46
	v_add_f16_e32 v54, v59, v58
	;; [unrolled: 1-line block ×3, first 2 shown]
	v_add_f16_sdwa v41, v41, v0 dst_sel:DWORD dst_unused:UNUSED_PAD src0_sel:DWORD src1_sel:WORD_1
	v_add_f16_e32 v1, v1, v0
	v_mul_f16_e32 v133, 0xb461, v68
	v_mul_f16_e32 v96, 0xbacd, v68
	;; [unrolled: 1-line block ×4, first 2 shown]
	v_add_f16_e32 v61, v98, v61
	v_mul_f16_e32 v178, 0xb461, v156
	v_add_f16_e32 v131, v152, v131
	v_add_f16_e32 v87, v158, v87
	;; [unrolled: 1-line block ×3, first 2 shown]
	v_sub_f16_e32 v64, v64, v90
	v_add_f16_e32 v42, v43, v42
	v_sub_f16_e32 v43, v142, v56
	v_add_f16_e32 v54, v58, v54
	v_add_f16_e32 v56, v124, v144
	;; [unrolled: 1-line block ×4, first 2 shown]
	v_mul_f16_e32 v98, 0xb8d2, v69
	v_mul_f16_e32 v153, 0xb461, v69
	;; [unrolled: 1-line block ×4, first 2 shown]
	v_add_f16_e32 v61, v106, v61
	v_mul_f16_e32 v106, 0x3722, v161
	v_add_f16_e32 v87, v87, v131
	v_mul_f16_e32 v131, 0x3b76, v161
	v_add_f16_e32 v64, v64, v85
	v_sub_f16_e32 v68, v68, v91
	v_add_f16_e32 v42, v43, v42
	v_sub_f16_e32 v43, v96, v45
	v_add_f16_e32 v45, v56, v54
	v_add_f16_e32 v54, v123, v178
	;; [unrolled: 1-line block ×4, first 2 shown]
	v_mul_f16_e32 v158, 0xbacd, v72
	v_mul_f16_e32 v90, 0x3722, v72
	;; [unrolled: 1-line block ×3, first 2 shown]
	v_add_f16_e32 v131, v162, v131
	v_mul_f16_e32 v162, 0xb8d2, v72
	v_mul_f16_e32 v72, 0x3b76, v72
	v_add_f16_e32 v64, v68, v64
	v_sub_f16_e32 v69, v69, v86
	v_add_f16_e32 v118, v118, v186
	v_mul_f16_e32 v186, 0x3b76, v163
	v_add_f16_e32 v14, v43, v42
	v_sub_f16_e32 v41, v153, v57
	v_add_f16_e32 v42, v54, v45
	v_add_f16_e32 v15, v130, v106
	;; [unrolled: 1-line block ×4, first 2 shown]
	v_mul_f16_e32 v68, 0xbbdd, v74
	v_mul_f16_e32 v86, 0x3b76, v74
	v_add_f16_e32 v64, v69, v64
	v_mul_f16_e32 v69, 0xbacd, v74
	v_sub_f16_e32 v72, v72, v89
	v_add_f16_e32 v126, v126, v166
	v_mul_f16_e32 v166, 0x39e9, v74
	v_mul_f16_e32 v74, 0xb8d2, v74
	v_add_f16_e32 v14, v41, v14
	v_sub_f16_e32 v40, v90, v60
	v_add_f16_e32 v12, v15, v42
	v_add_f16_e32 v15, v137, v186
	;; [unrolled: 1-line block ×6, first 2 shown]
	v_sub_f16_e32 v72, v74, v92
	v_add_f16_e32 v14, v40, v14
	v_sub_f16_e32 v13, v86, v67
	v_add_f16_e32 v12, v15, v12
	v_add_f16_e32 v15, v79, v170
	;; [unrolled: 1-line block ×4, first 2 shown]
	v_add_f16_sdwa v117, v117, v0 dst_sel:DWORD dst_unused:UNUSED_PAD src0_sel:DWORD src1_sel:WORD_1
	v_sub_f16_e32 v113, v175, v113
	v_add_f16_e32 v64, v72, v64
	v_add_f16_e32 v72, v108, v174
	;; [unrolled: 1-line block ×3, first 2 shown]
	v_sub_f16_e32 v13, v169, v75
	v_add_f16_sdwa v14, v15, v0 dst_sel:DWORD dst_unused:UNUSED_PAD src0_sel:DWORD src1_sel:WORD_1
	v_add_f16_e32 v15, v35, v36
	v_add_f16_e32 v1, v11, v1
	;; [unrolled: 1-line block ×4, first 2 shown]
	v_add_f16_sdwa v72, v72, v0 dst_sel:DWORD dst_unused:UNUSED_PAD src0_sel:DWORD src1_sel:WORD_1
	v_add_f16_e32 v0, v13, v0
	v_sub_f16_e32 v13, v179, v77
	v_add_f16_e32 v15, v34, v15
	v_add_f16_e32 v1, v8, v1
	;; [unrolled: 1-line block ×8, first 2 shown]
	v_mul_f16_e32 v147, 0xb8d2, v156
	v_mul_f16_e32 v152, 0x3b76, v156
	;; [unrolled: 1-line block ×3, first 2 shown]
	v_add_f16_e32 v74, v92, v74
	v_add_f16_e32 v92, v138, v148
	v_sub_f16_e32 v112, v185, v112
	v_add_f16_e32 v110, v110, v184
	v_sub_f16_e32 v9, v159, v93
	v_add_f16_e32 v13, v31, v13
	v_add_f16_e32 v1, v6, v1
	;; [unrolled: 1-line block ×4, first 2 shown]
	v_mul_f16_e32 v88, 0xbacd, v161
	v_mul_f16_e32 v91, 0x2de8, v161
	;; [unrolled: 1-line block ×3, first 2 shown]
	v_add_f16_e32 v74, v92, v74
	v_add_f16_e32 v92, v146, v156
	;; [unrolled: 1-line block ×3, first 2 shown]
	v_sub_f16_e32 v112, v143, v120
	v_add_f16_e32 v72, v110, v72
	v_add_f16_e32 v110, v119, v190
	;; [unrolled: 1-line block ×3, first 2 shown]
	v_sub_f16_e32 v6, v164, v104
	v_add_f16_e32 v9, v32, v13
	v_add_f16_e32 v1, v7, v1
	;; [unrolled: 1-line block ×4, first 2 shown]
	v_mul_f16_e32 v176, 0xbbdd, v163
	v_mul_f16_e32 v89, 0xbacd, v163
	;; [unrolled: 1-line block ×4, first 2 shown]
	v_add_f16_e32 v74, v92, v74
	v_add_f16_e32 v92, v154, v161
	;; [unrolled: 1-line block ×3, first 2 shown]
	v_sub_f16_e32 v99, v99, v127
	v_add_f16_e32 v72, v110, v72
	v_add_f16_e32 v101, v125, v101
	;; [unrolled: 1-line block ×3, first 2 shown]
	v_sub_f16_e32 v6, v133, v107
	v_add_f16_e32 v9, v30, v9
	v_add_f16_e32 v1, v4, v1
	;; [unrolled: 1-line block ×7, first 2 shown]
	v_sub_f16_e32 v108, v139, v136
	v_add_f16_e32 v72, v101, v72
	v_add_f16_e32 v101, v134, v132
	;; [unrolled: 1-line block ×7, first 2 shown]
	v_sub_f16_e32 v5, v98, v114
	v_add_f16_e32 v74, v92, v74
	v_add_f16_e32 v92, v108, v99
	v_sub_f16_e32 v97, v97, v141
	v_add_f16_e32 v72, v101, v72
	v_add_f16_e32 v99, v140, v152
	v_add_f16_e32 v6, v26, v6
	v_add_f16_e32 v1, v2, v1
	v_add_f16_e32 v4, v7, v4
	v_add_f16_e32 v7, v122, v88
	v_add_f16_e32 v0, v5, v0
	v_sub_f16_e32 v2, v158, v121
	v_add_f16_e32 v92, v97, v92
	v_sub_f16_e32 v97, v162, v150
	v_add_f16_e32 v72, v99, v72
	v_add_f16_e32 v91, v149, v91
	v_sub_f16_e32 v46, v85, v66
	v_add_f16_e32 v5, v25, v6
	v_add_f16_e32 v1, v3, v1
	;; [unrolled: 1-line block ×5, first 2 shown]
	v_sub_f16_e32 v2, v68, v128
	v_add_f16_e32 v55, v97, v92
	v_sub_f16_e32 v92, v166, v157
	v_add_f16_e32 v72, v91, v72
	v_add_f16_e32 v89, v155, v89
	;; [unrolled: 1-line block ×3, first 2 shown]
	v_sub_f16_e32 v46, v69, v70
	v_add_f16_e32 v87, v131, v87
	v_add_f16_e32 v118, v165, v118
	v_add_f16_sdwa v5, v24, v5 dst_sel:WORD_1 dst_unused:UNUSED_PAD src0_sel:DWORD src1_sel:DWORD
	v_add_f16_e32 v1, v23, v1
	v_mov_b32_e32 v6, 2
	v_add_f16_e32 v3, v3, v4
	v_add_f16_e32 v0, v2, v0
	;; [unrolled: 1-line block ×6, first 2 shown]
	v_or_b32_sdwa v1, v5, v1 dst_sel:DWORD dst_unused:UNUSED_PAD src0_sel:DWORD src1_sel:WORD_0
	v_lshlrev_b32_sdwa v4, v6, v49 dst_sel:DWORD dst_unused:UNUSED_PAD src0_sel:DWORD src1_sel:WORD_0
	v_pack_b32_f16 v5, v10, v12
	v_pack_b32_f16 v0, v0, v3
	v_pack_b32_f16 v3, v55, v74
	v_pack_b32_f16 v2, v2, v72
	v_pack_b32_f16 v6, v61, v63
	v_pack_b32_f16 v7, v64, v87
	ds_write_b32 v4, v1
	ds_write2_b32 v4, v0, v5 offset0:1 offset1:2
	ds_write2_b32 v4, v2, v3 offset0:3 offset1:4
	;; [unrolled: 1-line block ×3, first 2 shown]
	v_perm_b32 v0, v84, v19, 0x5040100
	v_perm_b32 v1, v71, v18, 0x5040100
	;; [unrolled: 1-line block ×10, first 2 shown]
	ds_write2_b32 v4, v1, v0 offset0:7 offset1:8
	ds_write2_b32 v4, v3, v2 offset0:9 offset1:10
	;; [unrolled: 1-line block ×5, first 2 shown]
.LBB0_7:
	s_or_b32 exec_lo, exec_lo, s0
	v_add_nc_u32_e32 v0, 0x680, v47
	v_add_nc_u32_e32 v1, 0xd80, v47
	s_waitcnt lgkmcnt(0)
	s_barrier
	buffer_gl0_inv
	ds_read2_b32 v[8:9], v47 offset1:221
	ds_read2_b32 v[12:13], v0 offset0:26 offset1:247
	ds_read2_b32 v[10:11], v1 offset0:20 offset1:241
	ds_read_b32 v14, v47 offset:5304
	v_cmp_gt_u16_e64 s0, 0x66, v48
	s_and_saveexec_b32 s1, s0
	s_cbranch_execz .LBB0_9
; %bb.8:
	v_add_nc_u32_e32 v0, 0x180, v47
	v_add_nc_u32_e32 v1, 0x880, v47
	;; [unrolled: 1-line block ×3, first 2 shown]
	ds_read2_b32 v[18:19], v0 offset0:23 offset1:244
	ds_read2_b32 v[27:28], v1 offset0:17 offset1:238
	;; [unrolled: 1-line block ×3, first 2 shown]
	ds_read_b32 v73, v47 offset:5780
	s_waitcnt lgkmcnt(3)
	v_lshrrev_b32_e32 v71, 16, v18
	v_lshrrev_b32_e32 v84, 16, v19
	s_waitcnt lgkmcnt(2)
	v_lshrrev_b32_e32 v83, 16, v27
	v_lshrrev_b32_e32 v82, 16, v28
	;; [unrolled: 3-line block ×3, first 2 shown]
	s_waitcnt lgkmcnt(0)
	v_lshrrev_b32_e32 v76, 16, v73
.LBB0_9:
	s_or_b32 exec_lo, exec_lo, s1
	v_and_b32_e32 v0, 0xff, v48
	v_add_nc_u16 v1, v48, 0x77
	s_waitcnt lgkmcnt(3)
	v_lshrrev_b32_e32 v31, 16, v9
	s_waitcnt lgkmcnt(2)
	v_lshrrev_b32_e32 v32, 16, v12
	;; [unrolled: 2-line block ×3, first 2 shown]
	v_mul_lo_u16 v0, 0xf1, v0
	v_and_b32_e32 v2, 0xff, v1
	s_waitcnt lgkmcnt(0)
	v_lshrrev_b32_e32 v36, 16, v14
	v_lshrrev_b32_e32 v33, 16, v13
	;; [unrolled: 1-line block ×3, first 2 shown]
	v_lshrrev_b16 v29, 12, v0
	v_mul_lo_u16 v0, v29, 17
	v_sub_nc_u16 v0, v48, v0
	v_and_b32_e32 v30, 0xff, v0
	v_mul_lo_u16 v0, 0xf1, v2
	v_mul_u32_u24_e32 v2, 6, v30
	v_lshrrev_b16 v54, 12, v0
	v_lshlrev_b32_e32 v0, 2, v2
	v_mul_lo_u16 v2, v54, 17
	s_clause 0x1
	global_load_dwordx4 v[4:7], v0, s[2:3]
	global_load_dwordx2 v[25:26], v0, s[2:3] offset:16
	v_sub_nc_u16 v1, v1, v2
	v_and_b32_e32 v55, 0xff, v1
	v_mul_u32_u24_e32 v0, 6, v55
	v_lshlrev_b32_e32 v15, 2, v0
	s_clause 0x1
	global_load_dwordx4 v[0:3], v15, s[2:3]
	global_load_dwordx2 v[23:24], v15, s[2:3] offset:16
	v_mov_b32_e32 v15, 0x77
	s_load_dwordx4 s[4:7], s[6:7], 0x0
	s_waitcnt vmcnt(0) lgkmcnt(0)
	s_barrier
	buffer_gl0_inv
	v_mul_u32_u24_sdwa v29, v29, v15 dst_sel:DWORD dst_unused:UNUSED_PAD src0_sel:WORD_0 src1_sel:DWORD
	v_add_lshl_u32 v56, v29, v30, 2
	v_mul_f16_sdwa v29, v31, v4 dst_sel:DWORD dst_unused:UNUSED_PAD src0_sel:DWORD src1_sel:WORD_1
	v_mul_f16_sdwa v30, v9, v4 dst_sel:DWORD dst_unused:UNUSED_PAD src0_sel:DWORD src1_sel:WORD_1
	;; [unrolled: 1-line block ×12, first 2 shown]
	v_fma_f16 v9, v9, v4, -v29
	v_fmac_f16_e32 v30, v31, v4
	v_fma_f16 v12, v12, v5, -v37
	v_fmac_f16_e32 v38, v32, v5
	v_fmac_f16_e32 v42, v34, v7
	v_fma_f16 v11, v11, v25, -v43
	v_fmac_f16_e32 v44, v35, v25
	v_fma_f16 v14, v14, v26, -v45
	v_fmac_f16_e32 v46, v36, v26
	v_mul_f16_sdwa v29, v84, v0 dst_sel:DWORD dst_unused:UNUSED_PAD src0_sel:DWORD src1_sel:WORD_1
	v_mul_f16_sdwa v32, v83, v1 dst_sel:DWORD dst_unused:UNUSED_PAD src0_sel:DWORD src1_sel:WORD_1
	;; [unrolled: 1-line block ×4, first 2 shown]
	v_fma_f16 v13, v13, v6, -v39
	v_fmac_f16_e32 v40, v33, v6
	v_fma_f16 v10, v10, v7, -v41
	v_mul_f16_sdwa v31, v19, v0 dst_sel:DWORD dst_unused:UNUSED_PAD src0_sel:DWORD src1_sel:WORD_1
	v_mul_f16_sdwa v33, v27, v1 dst_sel:DWORD dst_unused:UNUSED_PAD src0_sel:DWORD src1_sel:WORD_1
	;; [unrolled: 1-line block ×8, first 2 shown]
	v_fma_f16 v19, v19, v0, -v29
	v_fma_f16 v27, v27, v1, -v32
	;; [unrolled: 1-line block ×4, first 2 shown]
	v_add_f16_e32 v32, v9, v14
	v_add_f16_e32 v34, v30, v46
	v_sub_f16_e32 v36, v9, v14
	v_add_f16_e32 v9, v12, v11
	v_add_f16_e32 v14, v38, v44
	v_fmac_f16_e32 v31, v84, v0
	v_fmac_f16_e32 v33, v83, v1
	;; [unrolled: 1-line block ×4, first 2 shown]
	v_fma_f16 v17, v17, v23, -v39
	v_fmac_f16_e32 v41, v78, v23
	v_fma_f16 v16, v73, v24, -v43
	v_fmac_f16_e32 v45, v76, v24
	v_sub_f16_e32 v30, v30, v46
	v_sub_f16_e32 v11, v12, v11
	;; [unrolled: 1-line block ×3, first 2 shown]
	v_add_f16_e32 v38, v13, v10
	v_add_f16_e32 v39, v40, v42
	v_sub_f16_e32 v10, v10, v13
	v_sub_f16_e32 v13, v42, v40
	v_add_f16_e32 v40, v9, v32
	v_add_f16_e32 v42, v14, v34
	v_sub_f16_e32 v43, v9, v32
	v_sub_f16_e32 v44, v14, v34
	;; [unrolled: 1-line block ×5, first 2 shown]
	v_add_f16_e32 v58, v10, v11
	v_add_f16_e32 v59, v13, v12
	v_sub_f16_e32 v60, v10, v11
	v_sub_f16_e32 v61, v13, v12
	;; [unrolled: 1-line block ×6, first 2 shown]
	v_add_f16_e32 v10, v19, v16
	v_add_f16_e32 v13, v31, v45
	v_sub_f16_e32 v14, v19, v16
	v_add_f16_e32 v12, v27, v17
	v_add_f16_e32 v16, v33, v41
	v_sub_f16_e32 v17, v27, v17
	v_sub_f16_e32 v11, v33, v41
	v_add_f16_e32 v33, v28, v29
	v_add_f16_e32 v41, v35, v37
	v_sub_f16_e32 v28, v29, v28
	;; [unrolled: 4-line block ×3, first 2 shown]
	v_sub_f16_e32 v9, v31, v45
	v_mul_f16_e32 v40, 0x2b26, v57
	v_mul_f16_e32 v42, 0xb846, v60
	;; [unrolled: 1-line block ×3, first 2 shown]
	v_add_f16_e32 v60, v12, v10
	v_add_f16_e32 v61, v16, v13
	;; [unrolled: 1-line block ×3, first 2 shown]
	v_sub_f16_e32 v27, v28, v17
	v_sub_f16_e32 v28, v14, v28
	v_add_f16_sdwa v72, v38, v8 dst_sel:DWORD dst_unused:UNUSED_PAD src0_sel:DWORD src1_sel:WORD_1
	v_add_f16_e32 v36, v58, v36
	v_add_f16_e32 v30, v59, v30
	v_mul_f16_e32 v37, 0x3a52, v32
	v_mul_f16_e32 v34, 0x3a52, v34
	;; [unrolled: 1-line block ×5, first 2 shown]
	v_sub_f16_e32 v66, v10, v33
	v_sub_f16_e32 v67, v13, v41
	v_sub_f16_e32 v32, v41, v16
	v_add_f16_e32 v69, v29, v11
	v_sub_f16_e32 v19, v29, v11
	v_sub_f16_e32 v29, v9, v29
	v_add_f16_e32 v70, v35, v8
	v_fma_f16 v74, v44, 0x39e0, -v40
	v_add_f16_e32 v60, v33, v60
	v_add_f16_e32 v41, v41, v61
	v_mul_f16_e32 v40, 0x3574, v28
	v_lshlrev_b32_e32 v28, 16, v72
	v_sub_f16_e32 v31, v33, v12
	v_fmamk_f16 v46, v46, 0x2b26, v37
	v_fmamk_f16 v57, v57, 0x2b26, v34
	v_fma_f16 v73, v43, 0x39e0, -v39
	v_fma_f16 v43, v43, 0xb9e0, -v37
	;; [unrolled: 1-line block ×3, first 2 shown]
	v_fmamk_f16 v75, v62, 0x3574, v42
	v_fmamk_f16 v76, v63, 0x3574, v45
	v_fma_f16 v64, v64, 0x3b00, -v42
	v_fma_f16 v45, v65, 0x3b00, -v45
	;; [unrolled: 1-line block ×4, first 2 shown]
	v_mul_f16_e32 v34, 0x3a52, v66
	v_mul_f16_e32 v37, 0x3a52, v67
	;; [unrolled: 1-line block ×3, first 2 shown]
	v_fmac_f16_e32 v72, 0xbcab, v38
	v_add_f16_e32 v8, v18, v60
	v_add_f16_e32 v18, v71, v41
	v_or_b32_sdwa v61, v28, v70 dst_sel:DWORD dst_unused:UNUSED_PAD src0_sel:DWORD src1_sel:WORD_0
	v_fmac_f16_e32 v70, 0xbcab, v35
	v_add_f16_e32 v42, v68, v14
	v_add_f16_e32 v39, v69, v9
	v_fmac_f16_e32 v75, 0x370e, v36
	v_fmac_f16_e32 v76, 0x370e, v30
	;; [unrolled: 1-line block ×6, first 2 shown]
	v_fmamk_f16 v36, v31, 0x2b26, v34
	v_fmamk_f16 v38, v32, 0x2b26, v37
	;; [unrolled: 1-line block ×4, first 2 shown]
	v_add_f16_e32 v28, v57, v72
	v_add_f16_e32 v57, v74, v72
	v_fmamk_f16 v35, v60, 0xbcab, v8
	v_fmamk_f16 v41, v41, 0xbcab, v18
	v_add_f16_e32 v46, v46, v70
	v_add_f16_e32 v60, v73, v70
	;; [unrolled: 1-line block ×4, first 2 shown]
	v_fmac_f16_e32 v29, 0x370e, v42
	v_fmac_f16_e32 v30, 0x370e, v39
	v_sub_f16_e32 v62, v28, v75
	v_add_f16_e32 v65, v64, v57
	v_sub_f16_e32 v57, v57, v64
	v_add_f16_e32 v36, v36, v35
	v_add_f16_e32 v38, v38, v41
	;; [unrolled: 1-line block ×3, first 2 shown]
	v_sub_f16_e32 v67, v60, v45
	v_add_f16_e32 v45, v45, v60
	v_sub_f16_e32 v63, v44, v58
	v_add_f16_e32 v66, v59, v43
	v_add_f16_e32 v44, v58, v44
	v_sub_f16_e32 v43, v43, v59
	v_add_f16_e32 v58, v75, v28
	v_sub_f16_e32 v46, v46, v76
	v_sub_f16_e32 v28, v36, v30
	v_pack_b32_f16 v59, v64, v62
	v_pack_b32_f16 v45, v45, v57
	v_add_f16_e32 v57, v29, v38
	v_pack_b32_f16 v60, v66, v63
	v_pack_b32_f16 v62, v67, v65
	v_pack_b32_f16 v43, v43, v44
	v_pack_b32_f16 v44, v46, v58
	ds_write2_b32 v56, v61, v59 offset1:17
	ds_write2_b32 v56, v60, v62 offset0:34 offset1:51
	ds_write2_b32 v56, v45, v43 offset0:68 offset1:85
	ds_write_b32 v56, v44 offset:408
	s_and_saveexec_b32 s1, s0
	s_cbranch_execz .LBB0_11
; %bb.10:
	v_mul_f16_e32 v32, 0x2b26, v32
	v_sub_f16_e32 v14, v17, v14
	v_sub_f16_e32 v13, v16, v13
	v_mul_f16_e32 v16, 0xb846, v27
	v_mul_f16_e32 v31, 0x2b26, v31
	v_sub_f16_e32 v10, v12, v10
	v_sub_f16_e32 v9, v11, v9
	v_mul_f16_e32 v11, 0xb846, v19
	v_mul_f16_e32 v42, 0x370e, v42
	v_fma_f16 v17, v14, 0xbb00, -v40
	v_fma_f16 v27, v13, 0xb9e0, -v37
	;; [unrolled: 1-line block ×4, first 2 shown]
	v_mul_f16_e32 v12, 0x370e, v39
	v_fma_f16 v34, v10, 0xb9e0, -v34
	v_fma_f16 v33, v9, 0xbb00, -v33
	;; [unrolled: 1-line block ×4, first 2 shown]
	v_add_f16_e32 v17, v42, v17
	v_add_f16_e32 v19, v27, v41
	;; [unrolled: 1-line block ×9, first 2 shown]
	v_sub_f16_e32 v31, v13, v14
	v_add_f16_e32 v13, v14, v13
	v_sub_f16_e32 v14, v19, v17
	v_mul_u32_u24_sdwa v15, v54, v15 dst_sel:DWORD dst_unused:UNUSED_PAD src0_sel:WORD_0 src1_sel:DWORD
	v_sub_f16_e32 v17, v38, v29
	v_add_f16_e32 v19, v30, v36
	v_sub_f16_e32 v16, v27, v11
	v_add_f16_e32 v32, v9, v10
	v_add_f16_e32 v11, v11, v27
	v_sub_f16_e32 v9, v10, v9
	v_add_lshl_u32 v10, v15, v55, 2
	v_perm_b32 v8, v18, v8, 0x5040100
	v_pack_b32_f16 v15, v19, v17
	v_pack_b32_f16 v11, v11, v14
	v_pack_b32_f16 v9, v9, v13
	v_pack_b32_f16 v13, v32, v31
	v_pack_b32_f16 v12, v16, v12
	v_perm_b32 v14, v57, v28, 0x5040100
	ds_write2_b32 v10, v8, v15 offset1:17
	ds_write2_b32 v10, v11, v9 offset0:34 offset1:51
	ds_write2_b32 v10, v13, v12 offset0:68 offset1:85
	ds_write_b32 v10, v14 offset:408
.LBB0_11:
	s_or_b32 exec_lo, exec_lo, s1
	v_mad_u64_u32 v[8:9], null, v48, 48, s[2:3]
	s_waitcnt lgkmcnt(0)
	s_barrier
	buffer_gl0_inv
	v_add_nc_u32_e32 v42, 0x400, v47
	v_add_nc_u32_e32 v41, 0x800, v47
	;; [unrolled: 1-line block ×3, first 2 shown]
	s_clause 0x2
	global_load_dwordx4 v[16:19], v[8:9], off offset:408
	global_load_dwordx4 v[12:15], v[8:9], off offset:424
	;; [unrolled: 1-line block ×3, first 2 shown]
	ds_read2_b32 v[31:32], v47 offset0:119 offset1:238
	v_add_nc_u32_e32 v44, 0x1000, v47
	v_add_nc_u32_e32 v45, 0x1400, v47
	ds_read2_b32 v[37:38], v42 offset0:101 offset1:220
	ds_read2_b32 v[39:40], v41 offset0:83 offset1:202
	;; [unrolled: 1-line block ×5, first 2 shown]
	ds_read_b32 v58, v47
	s_waitcnt lgkmcnt(6)
	v_lshrrev_b32_e32 v46, 16, v31
	v_lshrrev_b32_e32 v61, 16, v32
	s_waitcnt lgkmcnt(3)
	v_lshrrev_b32_e32 v72, 16, v63
	v_lshrrev_b32_e32 v73, 16, v64
	;; [unrolled: 1-line block ×3, first 2 shown]
	s_waitcnt lgkmcnt(1)
	v_lshrrev_b32_e32 v77, 16, v68
	v_lshrrev_b32_e32 v69, 16, v38
	;; [unrolled: 1-line block ×7, first 2 shown]
	s_waitcnt vmcnt(2)
	v_mul_f16_sdwa v78, v46, v16 dst_sel:DWORD dst_unused:UNUSED_PAD src0_sel:DWORD src1_sel:WORD_1
	v_mul_f16_sdwa v79, v31, v16 dst_sel:DWORD dst_unused:UNUSED_PAD src0_sel:DWORD src1_sel:WORD_1
	;; [unrolled: 1-line block ×4, first 2 shown]
	s_waitcnt vmcnt(1)
	v_mul_f16_sdwa v87, v72, v14 dst_sel:DWORD dst_unused:UNUSED_PAD src0_sel:DWORD src1_sel:WORD_1
	v_mul_f16_sdwa v88, v73, v15 dst_sel:DWORD dst_unused:UNUSED_PAD src0_sel:DWORD src1_sel:WORD_1
	v_fma_f16 v78, v31, v16, -v78
	v_fmac_f16_e32 v79, v46, v16
	v_mul_f16_sdwa v82, v62, v18 dst_sel:DWORD dst_unused:UNUSED_PAD src0_sel:DWORD src1_sel:WORD_1
	v_mul_f16_sdwa v83, v37, v18 dst_sel:DWORD dst_unused:UNUSED_PAD src0_sel:DWORD src1_sel:WORD_1
	;; [unrolled: 1-line block ×4, first 2 shown]
	s_waitcnt vmcnt(0)
	v_mul_f16_sdwa v92, v77, v11 dst_sel:DWORD dst_unused:UNUSED_PAD src0_sel:DWORD src1_sel:WORD_1
	v_fma_f16 v80, v32, v17, -v80
	v_fmac_f16_e32 v81, v61, v17
	v_fma_f16 v32, v63, v14, -v87
	v_fma_f16 v46, v64, v15, -v88
	s_waitcnt lgkmcnt(0)
	v_add_f16_e32 v63, v78, v58
	v_add_f16_sdwa v64, v79, v58 dst_sel:DWORD dst_unused:UNUSED_PAD src0_sel:DWORD src1_sel:WORD_1
	v_mul_f16_sdwa v84, v69, v19 dst_sel:DWORD dst_unused:UNUSED_PAD src0_sel:DWORD src1_sel:WORD_1
	v_mul_f16_sdwa v60, v38, v19 dst_sel:DWORD dst_unused:UNUSED_PAD src0_sel:DWORD src1_sel:WORD_1
	;; [unrolled: 1-line block ×8, first 2 shown]
	v_fma_f16 v82, v37, v18, -v82
	v_fmac_f16_e32 v83, v62, v18
	v_fma_f16 v37, v68, v11, -v92
	v_add_f16_e32 v63, v63, v80
	v_add_f16_e32 v64, v64, v81
	v_mul_f16_sdwa v85, v70, v12 dst_sel:DWORD dst_unused:UNUSED_PAD src0_sel:DWORD src1_sel:WORD_1
	v_mul_f16_sdwa v59, v39, v12 dst_sel:DWORD dst_unused:UNUSED_PAD src0_sel:DWORD src1_sel:WORD_1
	;; [unrolled: 1-line block ×5, first 2 shown]
	v_fma_f16 v62, v38, v19, -v84
	v_fmac_f16_e32 v60, v69, v19
	v_fma_f16 v31, v40, v13, -v86
	v_fma_f16 v40, v65, v8, -v89
	v_fmac_f16_e32 v29, v74, v8
	v_fma_f16 v38, v67, v10, -v91
	v_fmac_f16_e32 v35, v77, v11
	v_fmac_f16_e32 v34, v76, v10
	v_sub_f16_e32 v67, v78, v37
	v_add_f16_e32 v63, v63, v82
	v_add_f16_e32 v64, v64, v83
	v_fma_f16 v61, v39, v12, -v85
	v_fmac_f16_e32 v59, v70, v12
	v_fmac_f16_e32 v27, v71, v13
	;; [unrolled: 1-line block ×4, first 2 shown]
	v_fma_f16 v39, v66, v9, -v90
	v_fmac_f16_e32 v33, v75, v9
	v_add_f16_e32 v65, v78, v37
	v_add_f16_e32 v66, v79, v35
	v_sub_f16_e32 v68, v79, v35
	v_add_f16_e32 v70, v81, v34
	v_sub_f16_e32 v71, v80, v38
	v_sub_f16_e32 v72, v81, v34
	v_add_f16_e32 v77, v62, v40
	v_add_f16_e32 v78, v60, v29
	v_sub_f16_e32 v79, v62, v40
	v_sub_f16_e32 v84, v60, v29
	v_mul_f16_e32 v81, 0xb770, v67
	v_add_f16_e32 v62, v63, v62
	v_add_f16_e32 v60, v64, v60
	v_add_f16_e32 v69, v80, v38
	v_add_f16_e32 v74, v83, v33
	v_sub_f16_e32 v75, v82, v39
	v_sub_f16_e32 v76, v83, v33
	v_add_f16_e32 v85, v61, v46
	v_add_f16_e32 v86, v59, v36
	v_sub_f16_e32 v87, v61, v46
	v_sub_f16_e32 v88, v59, v36
	v_mul_f16_e32 v80, 0xb770, v68
	v_mul_f16_e32 v89, 0xba95, v68
	;; [unrolled: 1-line block ×12, first 2 shown]
	v_fmamk_f16 v83, v66, 0x3b15, v81
	v_fma_f16 v81, v66, 0x3b15, -v81
	v_add_f16_e32 v61, v62, v61
	v_add_f16_e32 v59, v60, v59
	;; [unrolled: 1-line block ×3, first 2 shown]
	v_mul_f16_e32 v97, 0xba95, v72
	v_mul_f16_e32 v99, 0xbb7b, v72
	;; [unrolled: 1-line block ×12, first 2 shown]
	v_fma_f16 v82, v65, 0x3b15, -v80
	v_fmac_f16_e32 v80, 0x3b15, v65
	v_fma_f16 v136, v65, 0x388b, -v89
	v_fmamk_f16 v137, v66, 0x388b, v90
	v_fmac_f16_e32 v89, 0x388b, v65
	v_fma_f16 v90, v66, 0x388b, -v90
	v_fma_f16 v138, v65, 0x2fb7, -v91
	v_fmamk_f16 v139, v66, 0x2fb7, v92
	v_fmac_f16_e32 v91, 0x2fb7, v65
	v_fma_f16 v92, v66, 0x2fb7, -v92
	;; [unrolled: 4-line block ×3, first 2 shown]
	v_fma_f16 v142, v65, 0xb9fd, -v95
	v_fmac_f16_e32 v95, 0xb9fd, v65
	v_fma_f16 v144, v65, 0xbbc4, -v68
	v_fmamk_f16 v145, v66, 0xbbc4, v67
	v_fmac_f16_e32 v68, 0xbbc4, v65
	v_fma_f16 v65, v66, 0xbbc4, -v67
	v_fmamk_f16 v67, v70, 0x388b, v98
	v_fma_f16 v98, v70, 0x388b, -v98
	v_add_f16_sdwa v64, v83, v58 dst_sel:DWORD dst_unused:UNUSED_PAD src0_sel:DWORD src1_sel:WORD_1
	v_add_f16_sdwa v81, v81, v58 dst_sel:DWORD dst_unused:UNUSED_PAD src0_sel:DWORD src1_sel:WORD_1
	v_add_f16_e32 v61, v61, v31
	v_add_f16_e32 v59, v59, v27
	v_mul_f16_e32 v107, 0xbbf1, v76
	v_mul_f16_e32 v109, 0xb3a8, v76
	;; [unrolled: 1-line block ×12, first 2 shown]
	v_fmamk_f16 v143, v66, 0xb9fd, v96
	v_fma_f16 v96, v66, 0xb9fd, -v96
	v_fma_f16 v66, v69, 0x388b, -v97
	v_fmac_f16_e32 v97, 0x388b, v69
	v_fma_f16 v146, v69, 0xb5ac, -v99
	v_fmamk_f16 v147, v70, 0xb5ac, v100
	v_fmac_f16_e32 v99, 0xb5ac, v69
	v_fma_f16 v100, v70, 0xb5ac, -v100
	v_fma_f16 v148, v69, 0xbbc4, -v101
	v_fmamk_f16 v149, v70, 0xbbc4, v102
	v_fmac_f16_e32 v101, 0xbbc4, v69
	v_fma_f16 v102, v70, 0xbbc4, -v102
	;; [unrolled: 4-line block ×3, first 2 shown]
	v_fma_f16 v152, v69, 0x2fb7, -v105
	v_fmac_f16_e32 v105, 0x2fb7, v69
	v_fma_f16 v154, v69, 0x3b15, -v72
	v_fmamk_f16 v155, v70, 0x3b15, v71
	v_fmac_f16_e32 v72, 0x3b15, v69
	v_fma_f16 v69, v70, 0x3b15, -v71
	v_fmamk_f16 v71, v74, 0x2fb7, v108
	v_fma_f16 v108, v74, 0x2fb7, -v108
	v_add_f16_e32 v63, v82, v58
	v_add_f16_e32 v80, v80, v58
	;; [unrolled: 1-line block ×3, first 2 shown]
	v_add_f16_sdwa v83, v137, v58 dst_sel:DWORD dst_unused:UNUSED_PAD src0_sel:DWORD src1_sel:WORD_1
	v_add_f16_e32 v89, v89, v58
	v_add_f16_sdwa v90, v90, v58 dst_sel:DWORD dst_unused:UNUSED_PAD src0_sel:DWORD src1_sel:WORD_1
	v_add_f16_e32 v91, v91, v58
	;; [unrolled: 2-line block ×4, first 2 shown]
	v_add_f16_e32 v64, v98, v81
	v_add_f16_e32 v61, v61, v32
	v_add_f16_e32 v59, v59, v30
	v_mul_f16_e32 v117, 0xbb7b, v84
	v_mul_f16_e32 v119, 0x394e, v84
	;; [unrolled: 1-line block ×12, first 2 shown]
	v_fmamk_f16 v153, v70, 0x2fb7, v106
	v_fma_f16 v106, v70, 0x2fb7, -v106
	v_fma_f16 v70, v73, 0x2fb7, -v107
	v_fmac_f16_e32 v107, 0x2fb7, v73
	v_fma_f16 v156, v73, 0xbbc4, -v109
	v_fmamk_f16 v157, v74, 0xbbc4, v110
	v_fmac_f16_e32 v109, 0xbbc4, v73
	v_fma_f16 v110, v74, 0xbbc4, -v110
	v_fma_f16 v158, v73, 0xb5ac, -v111
	v_fmamk_f16 v159, v74, 0xb5ac, v112
	v_fmac_f16_e32 v111, 0xb5ac, v73
	v_fma_f16 v112, v74, 0xb5ac, -v112
	;; [unrolled: 4-line block ×3, first 2 shown]
	v_fma_f16 v162, v73, 0x388b, -v115
	v_fmac_f16_e32 v115, 0x388b, v73
	v_fma_f16 v164, v73, 0xb9fd, -v76
	v_fmamk_f16 v165, v74, 0xb9fd, v75
	v_fmac_f16_e32 v76, 0xb9fd, v73
	v_fma_f16 v73, v74, 0xb9fd, -v75
	v_fmamk_f16 v75, v78, 0xb5ac, v118
	v_fma_f16 v118, v78, 0xb5ac, -v118
	v_add_f16_e32 v136, v138, v58
	v_add_f16_sdwa v137, v139, v58 dst_sel:DWORD dst_unused:UNUSED_PAD src0_sel:DWORD src1_sel:WORD_1
	v_add_f16_e32 v138, v140, v58
	v_add_f16_sdwa v139, v141, v58 dst_sel:DWORD dst_unused:UNUSED_PAD src0_sel:DWORD src1_sel:WORD_1
	;; [unrolled: 2-line block ×6, first 2 shown]
	v_add_f16_e32 v60, v66, v63
	v_add_f16_e32 v63, v97, v80
	;; [unrolled: 1-line block ×13, first 2 shown]
	v_mul_f16_e32 v127, 0xb94e, v88
	v_mul_f16_e32 v129, 0x3bf1, v88
	;; [unrolled: 1-line block ×6, first 2 shown]
	v_fmamk_f16 v163, v74, 0x388b, v116
	v_fma_f16 v116, v74, 0x388b, -v116
	v_fma_f16 v74, v77, 0xb5ac, -v117
	v_fmac_f16_e32 v117, 0xb5ac, v77
	v_fma_f16 v166, v77, 0xb9fd, -v119
	v_fmamk_f16 v167, v78, 0xb9fd, v120
	v_fmac_f16_e32 v119, 0xb9fd, v77
	v_fma_f16 v120, v78, 0xb9fd, -v120
	v_fma_f16 v168, v77, 0x3b15, -v121
	v_fmamk_f16 v169, v78, 0x3b15, v122
	v_fmac_f16_e32 v121, 0x3b15, v77
	v_fma_f16 v122, v78, 0x3b15, -v122
	;; [unrolled: 4-line block ×3, first 2 shown]
	v_fma_f16 v172, v77, 0xbbc4, -v125
	v_fmac_f16_e32 v125, 0xbbc4, v77
	v_fma_f16 v174, v77, 0x388b, -v84
	v_fmamk_f16 v175, v78, 0x388b, v79
	v_fmac_f16_e32 v84, 0x388b, v77
	v_fma_f16 v77, v78, 0x388b, -v79
	v_fmamk_f16 v79, v86, 0xb9fd, v128
	v_fma_f16 v128, v86, 0xb9fd, -v128
	v_add_f16_e32 v81, v148, v136
	v_add_f16_e32 v82, v149, v137
	;; [unrolled: 1-line block ×17, first 2 shown]
	v_fmamk_f16 v173, v78, 0xbbc4, v126
	v_fma_f16 v126, v78, 0xbbc4, -v126
	v_fma_f16 v78, v85, 0xb9fd, -v127
	v_fmac_f16_e32 v127, 0xb9fd, v85
	v_fma_f16 v176, v85, 0x2fb7, -v129
	v_fmamk_f16 v177, v86, 0x2fb7, v130
	v_fma_f16 v130, v86, 0x2fb7, -v130
	v_fma_f16 v178, v85, 0x388b, -v131
	v_fmamk_f16 v179, v86, 0x388b, v132
	v_fmac_f16_e32 v131, 0x388b, v85
	v_fma_f16 v132, v86, 0x388b, -v132
	v_add_f16_e32 v90, v150, v138
	v_add_f16_e32 v97, v153, v141
	v_add_f16_e32 v70, v158, v81
	v_add_f16_e32 v71, v159, v82
	v_add_f16_e32 v82, v161, v91
	v_add_f16_e32 v58, v73, v58
	v_add_f16_e32 v60, v74, v60
	v_add_f16_e32 v62, v75, v62
	v_add_f16_e32 v63, v117, v63
	v_add_f16_e32 v65, v166, v65
	v_add_f16_e32 v66, v167, v66
	v_add_f16_e32 v69, v120, v69
	v_add_f16_e32 v72, v121, v72
	v_add_f16_e32 v73, v122, v80
	v_add_f16_e32 v80, v124, v89
	v_add_f16_e32 v39, v40, v39
	v_add_f16_e32 v29, v29, v33
	v_add_f16_e32 v40, v128, v64
	v_fma_f16 v64, v86, 0xbbc4, -v134
	v_mul_f16_e32 v133, 0x33a8, v88
	v_add_f16_e32 v95, v105, v95
	v_add_f16_e32 v99, v155, v143
	;; [unrolled: 1-line block ×17, first 2 shown]
	v_fmamk_f16 v62, v86, 0xbbc4, v134
	v_mul_f16_e32 v69, 0x3770, v87
	v_add_f16_e32 v72, v64, v80
	v_mul_f16_e32 v73, 0xbb7b, v87
	v_sub_f16_e32 v77, v27, v30
	v_sub_f16_e32 v80, v31, v32
	v_fma_f16 v180, v85, 0xbbc4, -v133
	v_add_f16_e32 v94, v152, v140
	v_add_f16_e32 v98, v154, v142
	;; [unrolled: 1-line block ×8, first 2 shown]
	v_add_f16_sdwa v29, v29, v35 dst_sel:WORD_1 dst_unused:UNUSED_PAD src0_sel:DWORD src1_sel:DWORD
	v_add_f16_e32 v35, v178, v70
	v_add_f16_e32 v70, v62, v75
	v_fmamk_f16 v62, v86, 0x3b15, v69
	v_fmamk_f16 v75, v86, 0xb5ac, v73
	v_add_f16_e32 v79, v31, v32
	v_mul_f16_e32 v31, 0xb3a8, v77
	v_fma_f16 v32, v86, 0xb5ac, -v73
	v_add_f16_e32 v73, v27, v30
	v_mul_f16_e32 v27, 0xb3a8, v80
	v_add_f16_e32 v67, v109, v67
	v_add_f16_e32 v90, v162, v94
	;; [unrolled: 1-line block ×4, first 2 shown]
	v_or_b32_sdwa v29, v29, v37 dst_sel:DWORD dst_unused:UNUSED_PAD src0_sel:DWORD src1_sel:WORD_0
	v_add_f16_e32 v37, v180, v74
	v_mul_f16_e32 v64, 0xbb7b, v88
	v_add_f16_e32 v74, v62, v82
	v_fma_f16 v30, v79, 0xbbc4, -v31
	v_add_f16_e32 v82, v32, v36
	v_fmamk_f16 v36, v73, 0xbbc4, v27
	v_fmac_f16_e32 v129, 0x2fb7, v85
	v_add_f16_e32 v67, v119, v67
	v_add_f16_e32 v59, v174, v94
	v_fma_f16 v62, v85, 0xb5ac, -v64
	v_add_f16_e32 v75, v75, v61
	v_mul_f16_e32 v32, 0x3770, v77
	v_add_f16_e32 v30, v30, v46
	v_fmac_f16_e32 v31, 0xbbc4, v79
	v_fma_f16 v46, v73, 0xbbc4, -v27
	v_add_f16_e32 v61, v36, v58
	v_mul_f16_e32 v36, 0x3770, v80
	v_mul_f16_e32 v135, 0x3770, v88
	v_add_f16_e32 v68, v76, v68
	v_add_f16_e32 v71, v169, v71
	;; [unrolled: 1-line block ×4, first 2 shown]
	v_fma_f16 v59, v79, 0x3b15, -v32
	v_add_f16_e32 v27, v31, v33
	v_add_f16_e32 v58, v46, v40
	v_mul_f16_e32 v33, 0xb94e, v77
	v_fmamk_f16 v40, v73, 0x3b15, v36
	v_fmac_f16_e32 v32, 0x3b15, v79
	v_fma_f16 v36, v73, 0x3b15, -v36
	v_mul_f16_e32 v46, 0xb94e, v80
	v_add_f16_e32 v96, v106, v96
	v_add_f16_e32 v76, v123, v83
	;; [unrolled: 1-line block ×5, first 2 shown]
	v_fmac_f16_e32 v133, 0xbbc4, v85
	v_fma_f16 v67, v85, 0x3b15, -v135
	v_fmac_f16_e32 v64, 0xb5ac, v85
	v_add_f16_e32 v31, v59, v60
	v_fma_f16 v60, v79, 0xb9fd, -v33
	v_add_f16_e32 v62, v40, v34
	v_add_f16_e32 v34, v32, v39
	;; [unrolled: 1-line block ×3, first 2 shown]
	v_fmamk_f16 v36, v73, 0xb9fd, v46
	v_mul_f16_e32 v39, 0x3a95, v77
	v_add_f16_e32 v93, v116, v96
	v_add_f16_e32 v71, v133, v76
	;; [unrolled: 1-line block ×5, first 2 shown]
	v_fma_f16 v35, v73, 0xb9fd, -v46
	v_add_f16_e32 v64, v36, v38
	v_mul_f16_e32 v36, 0x3a95, v80
	v_fma_f16 v38, v79, 0x388b, -v39
	v_mul_f16_e32 v40, 0xbb7b, v77
	v_fmac_f16_e32 v39, 0x388b, v79
	v_add_f16_e32 v89, v126, v93
	v_fma_f16 v69, v86, 0x3b15, -v69
	v_fmac_f16_e32 v33, 0xb9fd, v79
	v_add_f16_e32 v60, v35, v66
	v_fmamk_f16 v46, v73, 0x388b, v36
	v_add_f16_e32 v35, v38, v37
	v_fma_f16 v36, v73, 0x388b, -v36
	v_fma_f16 v37, v79, 0xb5ac, -v40
	v_add_f16_e32 v38, v39, v71
	v_mul_f16_e32 v39, 0xbb7b, v80
	v_add_f16_e32 v83, v125, v92
	v_fmac_f16_e32 v135, 0x3b15, v85
	v_add_f16_e32 v69, v69, v89
	v_add_f16_e32 v33, v33, v65
	;; [unrolled: 1-line block ×5, first 2 shown]
	v_mul_f16_e32 v46, 0x3bf1, v77
	v_mul_f16_e32 v70, 0x3bf1, v80
	v_fmamk_f16 v37, v73, 0xb5ac, v39
	v_fma_f16 v39, v73, 0xb5ac, -v39
	v_add_f16_e32 v76, v135, v83
	v_fmac_f16_e32 v40, 0xb5ac, v79
	v_fma_f16 v67, v79, 0x2fb7, -v46
	v_fmamk_f16 v71, v73, 0x2fb7, v70
	v_add_f16_e32 v66, v39, v69
	v_fmac_f16_e32 v46, 0x2fb7, v79
	v_fma_f16 v69, v73, 0x2fb7, -v70
	v_add_f16_e32 v68, v37, v74
	v_add_f16_e32 v37, v40, v76
	;; [unrolled: 1-line block ×4, first 2 shown]
	v_pack_b32_f16 v70, v30, v61
	v_add_f16_e32 v40, v46, v81
	v_add_f16_e32 v69, v69, v82
	v_pack_b32_f16 v71, v31, v62
	v_pack_b32_f16 v72, v32, v64
	v_add_nc_u32_e32 v73, 0x200, v47
	ds_write_b32 v47, v29
	ds_write_b32 v47, v70 offset:476
	ds_write2_b32 v73, v71, v72 offset0:110 offset1:229
	v_pack_b32_f16 v71, v35, v65
	v_pack_b32_f16 v72, v36, v68
	v_add_nc_u32_e32 v46, 0x600, v47
	v_add_nc_u32_e32 v70, 0xe00, v47
	v_pack_b32_f16 v73, v39, v67
	v_pack_b32_f16 v74, v40, v69
	v_add_nc_u32_e32 v75, 0xa00, v47
	v_pack_b32_f16 v76, v37, v66
	v_pack_b32_f16 v77, v38, v63
	;; [unrolled: 1-line block ×4, first 2 shown]
	v_add_nc_u32_e32 v80, 0x1200, v47
	v_pack_b32_f16 v81, v27, v58
	ds_write2_b32 v46, v71, v72 offset0:92 offset1:211
	ds_write2_b32 v75, v73, v74 offset0:74 offset1:193
	ds_write2_b32 v70, v76, v77 offset0:56 offset1:175
	ds_write2_b32 v80, v78, v79 offset0:38 offset1:157
	ds_write_b32 v47, v81 offset:5712
	s_waitcnt lgkmcnt(0)
	s_barrier
	buffer_gl0_inv
	s_and_saveexec_b32 s2, vcc_lo
	s_cbranch_execz .LBB0_13
; %bb.12:
	v_add_co_u32 v75, s1, s8, v47
	v_add_co_ci_u32_e64 v76, null, s9, 0, s1
	v_add_co_u32 v71, s1, 0x1800, v75
	v_add_co_ci_u32_e64 v72, s1, 0, v76, s1
	global_load_dword v77, v[71:72], off offset:44
	v_add_co_u32 v71, s1, 0x182c, v75
	v_add_co_ci_u32_e64 v72, s1, 0, v76, s1
	v_add_co_u32 v73, s1, 0x2000, v75
	v_add_co_ci_u32_e64 v74, s1, 0, v76, s1
	s_clause 0x8
	global_load_dword v87, v[71:72], off offset:364
	global_load_dword v88, v[71:72], off offset:728
	;; [unrolled: 1-line block ×9, first 2 shown]
	v_add_co_u32 v71, s1, 0x2800, v75
	v_add_co_ci_u32_e64 v72, s1, 0, v76, s1
	s_clause 0x6
	global_load_dword v96, v[73:74], off offset:1636
	global_load_dword v97, v[73:74], off offset:2000
	;; [unrolled: 1-line block ×7, first 2 shown]
	ds_read_b32 v71, v47
	s_waitcnt lgkmcnt(0)
	v_lshrrev_b32_e32 v72, 16, v71
	s_waitcnt vmcnt(16)
	v_mul_f16_sdwa v73, v72, v77 dst_sel:DWORD dst_unused:UNUSED_PAD src0_sel:DWORD src1_sel:WORD_1
	v_mul_f16_sdwa v74, v71, v77 dst_sel:DWORD dst_unused:UNUSED_PAD src0_sel:DWORD src1_sel:WORD_1
	v_fma_f16 v71, v71, v77, -v73
	v_fmac_f16_e32 v74, v72, v77
	v_pack_b32_f16 v71, v71, v74
	ds_write_b32 v47, v71
	ds_read2_b32 v[71:72], v47 offset0:91 offset1:182
	ds_read2_b32 v[73:74], v42 offset0:17 offset1:108
	ds_read2_b32 v[75:76], v46 offset0:71 offset1:162
	ds_read2_b32 v[77:78], v41 offset0:125 offset1:216
	ds_read2_b32 v[79:80], v43 offset0:51 offset1:142
	ds_read2_b32 v[81:82], v70 offset0:105 offset1:196
	ds_read2_b32 v[83:84], v44 offset0:159 offset1:250
	ds_read2_b32 v[85:86], v45 offset0:85 offset1:176
	s_waitcnt lgkmcnt(7)
	v_lshrrev_b32_e32 v103, 16, v71
	s_waitcnt vmcnt(15)
	v_mul_f16_sdwa v104, v71, v87 dst_sel:DWORD dst_unused:UNUSED_PAD src0_sel:DWORD src1_sel:WORD_1
	v_lshrrev_b32_e32 v105, 16, v72
	s_waitcnt vmcnt(14)
	v_mul_f16_sdwa v106, v72, v88 dst_sel:DWORD dst_unused:UNUSED_PAD src0_sel:DWORD src1_sel:WORD_1
	s_waitcnt lgkmcnt(6)
	v_lshrrev_b32_e32 v107, 16, v73
	s_waitcnt vmcnt(13)
	v_mul_f16_sdwa v108, v73, v89 dst_sel:DWORD dst_unused:UNUSED_PAD src0_sel:DWORD src1_sel:WORD_1
	v_lshrrev_b32_e32 v109, 16, v74
	s_waitcnt vmcnt(12)
	v_mul_f16_sdwa v110, v74, v90 dst_sel:DWORD dst_unused:UNUSED_PAD src0_sel:DWORD src1_sel:WORD_1
	s_waitcnt lgkmcnt(5)
	v_lshrrev_b32_e32 v111, 16, v75
	s_waitcnt vmcnt(9)
	v_mul_f16_sdwa v112, v75, v93 dst_sel:DWORD dst_unused:UNUSED_PAD src0_sel:DWORD src1_sel:WORD_1
	v_lshrrev_b32_e32 v113, 16, v76
	v_mul_f16_sdwa v114, v76, v91 dst_sel:DWORD dst_unused:UNUSED_PAD src0_sel:DWORD src1_sel:WORD_1
	s_waitcnt lgkmcnt(4)
	v_lshrrev_b32_e32 v115, 16, v77
	v_mul_f16_sdwa v116, v77, v92 dst_sel:DWORD dst_unused:UNUSED_PAD src0_sel:DWORD src1_sel:WORD_1
	v_lshrrev_b32_e32 v117, 16, v78
	s_waitcnt vmcnt(8)
	v_mul_f16_sdwa v118, v78, v94 dst_sel:DWORD dst_unused:UNUSED_PAD src0_sel:DWORD src1_sel:WORD_1
	s_waitcnt lgkmcnt(3)
	v_lshrrev_b32_e32 v119, 16, v79
	s_waitcnt vmcnt(7)
	v_mul_f16_sdwa v120, v79, v95 dst_sel:DWORD dst_unused:UNUSED_PAD src0_sel:DWORD src1_sel:WORD_1
	v_lshrrev_b32_e32 v121, 16, v80
	s_waitcnt vmcnt(6)
	v_mul_f16_sdwa v122, v80, v96 dst_sel:DWORD dst_unused:UNUSED_PAD src0_sel:DWORD src1_sel:WORD_1
	s_waitcnt lgkmcnt(2)
	v_lshrrev_b32_e32 v123, 16, v81
	s_waitcnt vmcnt(5)
	;; [unrolled: 7-line block ×4, first 2 shown]
	v_mul_f16_sdwa v132, v85, v101 dst_sel:DWORD dst_unused:UNUSED_PAD src0_sel:DWORD src1_sel:WORD_1
	v_lshrrev_b32_e32 v133, 16, v86
	v_mul_f16_sdwa v135, v103, v87 dst_sel:DWORD dst_unused:UNUSED_PAD src0_sel:DWORD src1_sel:WORD_1
	v_fmac_f16_e32 v104, v103, v87
	v_mul_f16_sdwa v103, v105, v88 dst_sel:DWORD dst_unused:UNUSED_PAD src0_sel:DWORD src1_sel:WORD_1
	v_fmac_f16_e32 v106, v105, v88
	;; [unrolled: 2-line block ×9, first 2 shown]
	v_mul_f16_sdwa v119, v121, v96 dst_sel:DWORD dst_unused:UNUSED_PAD src0_sel:DWORD src1_sel:WORD_1
	s_waitcnt vmcnt(0)
	v_mul_f16_sdwa v134, v86, v102 dst_sel:DWORD dst_unused:UNUSED_PAD src0_sel:DWORD src1_sel:WORD_1
	v_fmac_f16_e32 v122, v121, v96
	v_mul_f16_sdwa v121, v123, v97 dst_sel:DWORD dst_unused:UNUSED_PAD src0_sel:DWORD src1_sel:WORD_1
	v_fmac_f16_e32 v124, v123, v97
	;; [unrolled: 2-line block ×6, first 2 shown]
	v_mul_f16_sdwa v131, v133, v102 dst_sel:DWORD dst_unused:UNUSED_PAD src0_sel:DWORD src1_sel:WORD_1
	v_fma_f16 v71, v71, v87, -v135
	v_fma_f16 v72, v72, v88, -v103
	;; [unrolled: 1-line block ×10, first 2 shown]
	v_fmac_f16_e32 v134, v133, v102
	v_fma_f16 v81, v81, v97, -v121
	v_fma_f16 v82, v82, v98, -v123
	;; [unrolled: 1-line block ×6, first 2 shown]
	v_pack_b32_f16 v71, v71, v104
	v_pack_b32_f16 v72, v72, v106
	;; [unrolled: 1-line block ×16, first 2 shown]
	ds_write2_b32 v47, v71, v72 offset0:91 offset1:182
	ds_write2_b32 v42, v73, v74 offset0:17 offset1:108
	;; [unrolled: 1-line block ×8, first 2 shown]
.LBB0_13:
	s_or_b32 exec_lo, exec_lo, s2
	s_waitcnt lgkmcnt(0)
	s_barrier
	buffer_gl0_inv
	s_and_saveexec_b32 s1, vcc_lo
	s_cbranch_execz .LBB0_15
; %bb.14:
	v_add_nc_u32_e32 v21, 0x200, v47
	v_add_nc_u32_e32 v22, 0x400, v47
	;; [unrolled: 1-line block ×3, first 2 shown]
	ds_read2_b32 v[29:30], v47 offset1:91
	ds_read2_b32 v[31:32], v21 offset0:54 offset1:145
	v_add_nc_u32_e32 v21, 0xa00, v47
	ds_read2_b32 v[35:36], v22 offset0:108 offset1:199
	v_add_nc_u32_e32 v22, 0xc00, v47
	;; [unrolled: 2-line block ×4, first 2 shown]
	ds_read2_b32 v[33:34], v22 offset0:142 offset1:233
	ds_read2_b32 v[27:28], v27 offset0:68 offset1:159
	;; [unrolled: 1-line block ×3, first 2 shown]
	ds_read_b32 v50, v47 offset:5824
	s_waitcnt lgkmcnt(8)
	v_lshrrev_b32_e32 v61, 16, v30
	s_waitcnt lgkmcnt(7)
	v_lshrrev_b32_e32 v62, 16, v31
	v_lshrrev_b32_e32 v64, 16, v32
	s_waitcnt lgkmcnt(6)
	v_lshrrev_b32_e32 v65, 16, v35
	;; [unrolled: 3-line block ×8, first 2 shown]
.LBB0_15:
	s_or_b32 exec_lo, exec_lo, s1
	v_add_f16_e32 v89, v51, v61
	v_sub_f16_e32 v71, v30, v50
	v_sub_f16_e32 v86, v61, v51
	v_add_f16_e32 v70, v50, v30
	v_sub_f16_e32 v90, v62, v52
	v_mul_f16_e32 v116, 0xb8d2, v89
	v_mul_f16_e32 v74, 0xbacd, v89
	;; [unrolled: 1-line block ×5, first 2 shown]
	v_fmamk_f16 v72, v71, 0xba62, v116
	v_mul_f16_e32 v105, 0xb1e1, v90
	v_mul_f16_e32 v104, 0x2de8, v89
	v_fma_f16 v41, v70, 0x2de8, -v101
	v_mul_f16_e32 v114, 0xba62, v86
	v_add_f16_sdwa v75, v72, v29 dst_sel:DWORD dst_unused:UNUSED_PAD src0_sel:DWORD src1_sel:WORD_1
	v_fmamk_f16 v72, v71, 0x3836, v74
	v_fma_f16 v43, v70, 0xb461, -v106
	v_add_f16_e32 v41, v41, v29
	v_fmac_f16_e32 v74, 0xb836, v71
	v_add_f16_e32 v93, v52, v62
	v_add_f16_sdwa v78, v72, v29 dst_sel:DWORD dst_unused:UNUSED_PAD src0_sel:DWORD src1_sel:WORD_1
	v_fmamk_f16 v72, v70, 0xbbdd, v76
	v_mul_f16_e32 v115, 0x3836, v90
	v_mul_f16_e32 v109, 0xb461, v89
	v_fmamk_f16 v42, v71, 0xbbf7, v104
	v_mul_f16_e32 v44, 0xb836, v86
	v_add_f16_e32 v81, v72, v29
	v_add_f16_e32 v72, v22, v31
	;; [unrolled: 1-line block ×3, first 2 shown]
	v_fma_f16 v46, v70, 0xb8d2, -v114
	v_add_f16_sdwa v80, v74, v29 dst_sel:DWORD dst_unused:UNUSED_PAD src0_sel:DWORD src1_sel:WORD_1
	v_sub_f16_e32 v74, v31, v22
	v_fma_f16 v82, v72, 0xbbdd, -v105
	v_mul_f16_e32 v110, 0xbbdd, v93
	v_mul_f16_e32 v122, 0x3bb2, v90
	v_add_f16_sdwa v42, v42, v29 dst_sel:DWORD dst_unused:UNUSED_PAD src0_sel:DWORD src1_sel:WORD_1
	v_fmamk_f16 v45, v71, 0xbbb2, v109
	v_add_f16_e32 v41, v82, v41
	v_fma_f16 v82, v72, 0xbacd, -v115
	v_fmamk_f16 v73, v70, 0xbacd, v44
	v_add_f16_e32 v46, v46, v29
	v_fma_f16 v44, v70, 0xbacd, -v44
	v_fmamk_f16 v83, v74, 0xb1e1, v110
	v_mul_f16_e32 v117, 0xbacd, v93
	v_add_f16_e32 v43, v82, v43
	v_fma_f16 v82, v72, 0xb461, -v122
	v_mul_f16_e32 v84, 0x3b29, v90
	v_add_f16_sdwa v45, v45, v29 dst_sel:DWORD dst_unused:UNUSED_PAD src0_sel:DWORD src1_sel:WORD_1
	v_add_f16_e32 v73, v73, v29
	v_mul_f16_e32 v77, 0xbbdd, v89
	v_add_f16_e32 v44, v44, v29
	v_add_f16_e32 v42, v83, v42
	v_mul_f16_e32 v126, 0xb461, v93
	v_fmamk_f16 v83, v74, 0x3836, v117
	v_add_f16_e32 v46, v82, v46
	v_fmamk_f16 v82, v72, 0x3722, v84
	v_mul_f16_e32 v87, 0x35c8, v90
	v_fma_f16 v84, v72, 0x3722, -v84
	v_fmamk_f16 v79, v71, 0x31e1, v77
	v_fmamk_f16 v85, v74, 0x3bb2, v126
	v_add_f16_e32 v45, v83, v45
	v_mul_f16_e32 v83, 0x3722, v93
	v_add_f16_e32 v73, v82, v73
	v_fmamk_f16 v82, v72, 0x3b76, v87
	v_add_f16_e32 v44, v84, v44
	v_mul_f16_e32 v84, 0x3b76, v93
	v_add_f16_sdwa v79, v79, v29 dst_sel:DWORD dst_unused:UNUSED_PAD src0_sel:DWORD src1_sel:WORD_1
	v_fma_f16 v76, v70, 0xbbdd, -v76
	v_add_f16_e32 v85, v85, v75
	v_fmamk_f16 v75, v74, 0xbb29, v83
	v_add_f16_e32 v81, v82, v81
	v_sub_f16_e32 v94, v64, v53
	v_add_f16_e32 v97, v53, v64
	v_fmamk_f16 v82, v74, 0xb5c8, v84
	v_fmac_f16_e32 v77, 0xb1e1, v71
	v_add_f16_e32 v76, v76, v29
	v_add_f16_e32 v88, v75, v78
	;; [unrolled: 1-line block ×3, first 2 shown]
	v_sub_f16_e32 v78, v32, v21
	v_mul_f16_e32 v118, 0xb461, v97
	v_add_f16_e32 v79, v82, v79
	v_fma_f16 v82, v72, 0x3b76, -v87
	v_mul_f16_e32 v123, 0x3964, v94
	v_add_f16_sdwa v77, v77, v29 dst_sel:DWORD dst_unused:UNUSED_PAD src0_sel:DWORD src1_sel:WORD_1
	v_fmac_f16_e32 v83, 0x3b29, v74
	v_mul_f16_e32 v112, 0x3bb2, v94
	v_fmac_f16_e32 v84, 0x35c8, v74
	v_fmamk_f16 v87, v78, 0x3bb2, v118
	v_add_f16_e32 v76, v82, v76
	v_fma_f16 v82, v75, 0x39e9, -v123
	v_mul_f16_e32 v124, 0x39e9, v97
	v_mul_f16_e32 v130, 0xb5c8, v94
	;; [unrolled: 1-line block ×3, first 2 shown]
	v_add_f16_e32 v80, v83, v80
	v_fma_f16 v83, v75, 0xb461, -v112
	v_add_f16_e32 v77, v84, v77
	v_add_f16_e32 v42, v87, v42
	;; [unrolled: 1-line block ×3, first 2 shown]
	v_fmamk_f16 v82, v78, 0x3964, v124
	v_fma_f16 v84, v75, 0x3b76, -v130
	v_fmamk_f16 v87, v78, 0xb5c8, v133
	v_mul_f16_e32 v92, 0x2de8, v97
	v_add_f16_e32 v41, v83, v41
	v_mul_f16_e32 v83, 0xbbf7, v94
	v_add_f16_e32 v45, v82, v45
	v_add_f16_e32 v46, v84, v46
	;; [unrolled: 1-line block ×3, first 2 shown]
	v_fmamk_f16 v84, v78, 0x3bf7, v92
	v_mul_f16_e32 v85, 0xb836, v94
	v_fmamk_f16 v91, v75, 0x2de8, v83
	v_mul_f16_e32 v87, 0xbacd, v97
	v_fma_f16 v83, v75, 0x2de8, -v83
	v_add_f16_e32 v88, v84, v88
	v_fmamk_f16 v84, v75, 0xbacd, v85
	v_sub_f16_e32 v98, v65, v57
	v_add_f16_e32 v102, v57, v65
	v_add_f16_e32 v73, v91, v73
	v_fmamk_f16 v91, v78, 0x3836, v87
	v_add_f16_e32 v44, v83, v44
	v_add_f16_e32 v81, v84, v81
	v_add_f16_e32 v84, v28, v35
	v_mul_f16_e32 v119, 0x35c8, v98
	v_fma_f16 v83, v75, 0xbacd, -v85
	v_fmac_f16_e32 v87, 0xb836, v78
	v_sub_f16_e32 v85, v35, v28
	v_mul_f16_e32 v127, 0x3b76, v102
	v_mul_f16_e32 v129, 0xbb29, v98
	v_add_f16_e32 v79, v91, v79
	v_fma_f16 v91, v84, 0x3b76, -v119
	v_add_f16_e32 v76, v83, v76
	v_add_f16_e32 v77, v87, v77
	v_fmamk_f16 v83, v85, 0x35c8, v127
	v_mul_f16_e32 v131, 0x3722, v102
	v_fma_f16 v87, v84, 0x3722, -v129
	v_mul_f16_e32 v136, 0xb836, v98
	v_fmac_f16_e32 v92, 0xbbf7, v78
	v_add_f16_e32 v41, v91, v41
	v_add_f16_e32 v42, v83, v42
	v_mul_f16_e32 v137, 0xbacd, v102
	v_fmamk_f16 v83, v85, 0xbb29, v131
	v_add_f16_e32 v43, v87, v43
	v_fma_f16 v87, v84, 0xbacd, -v136
	v_mul_f16_e32 v91, 0x3a62, v98
	v_add_f16_e32 v80, v92, v80
	v_fmamk_f16 v92, v85, 0xb836, v137
	v_add_f16_e32 v45, v83, v45
	v_mul_f16_e32 v83, 0xb8d2, v102
	v_add_f16_e32 v46, v87, v46
	v_fmamk_f16 v87, v84, 0xb8d2, v91
	v_fma_f16 v91, v84, 0xb8d2, -v91
	v_add_f16_e32 v82, v92, v82
	v_mul_f16_e32 v92, 0x3964, v98
	v_fmamk_f16 v95, v85, 0xba62, v83
	v_fmac_f16_e32 v83, 0x3a62, v85
	v_add_f16_e32 v44, v91, v44
	v_mul_f16_e32 v91, 0x39e9, v102
	v_add_f16_e32 v73, v87, v73
	v_fmamk_f16 v87, v84, 0x39e9, v92
	v_add_f16_e32 v80, v83, v80
	v_sub_f16_e32 v103, v68, v58
	v_fmamk_f16 v83, v85, 0xb964, v91
	v_add_f16_e32 v107, v58, v68
	v_add_f16_e32 v81, v87, v81
	;; [unrolled: 1-line block ×3, first 2 shown]
	v_mul_f16_e32 v128, 0xbb29, v103
	v_add_f16_e32 v79, v83, v79
	v_fma_f16 v83, v84, 0x39e9, -v92
	v_mul_f16_e32 v135, 0xb1e1, v103
	v_add_f16_e32 v95, v95, v88
	v_sub_f16_e32 v88, v36, v27
	v_mul_f16_e32 v132, 0x3722, v107
	v_fma_f16 v92, v87, 0x3722, -v128
	v_add_f16_e32 v76, v83, v76
	v_fma_f16 v83, v87, 0xbbdd, -v135
	v_mul_f16_e32 v138, 0xbbdd, v107
	v_mul_f16_e32 v142, 0x3bf7, v103
	v_fmac_f16_e32 v91, 0x3964, v85
	v_fmamk_f16 v96, v88, 0xbb29, v132
	v_add_f16_e32 v41, v92, v41
	v_mul_f16_e32 v145, 0x2de8, v107
	v_add_f16_e32 v43, v83, v43
	v_fmamk_f16 v83, v88, 0xb1e1, v138
	v_fma_f16 v92, v87, 0x2de8, -v142
	v_mul_f16_e32 v100, 0x3b76, v107
	v_add_f16_e32 v77, v91, v77
	v_add_f16_e32 v42, v96, v42
	v_mul_f16_e32 v91, 0xb5c8, v103
	v_fmamk_f16 v96, v88, 0x3bf7, v145
	v_add_f16_e32 v45, v83, v45
	v_add_f16_e32 v46, v92, v46
	v_fmamk_f16 v83, v88, 0x35c8, v100
	v_mul_f16_e32 v92, 0xba62, v103
	v_fmamk_f16 v99, v87, 0x3b76, v91
	v_add_f16_e32 v82, v96, v82
	v_mul_f16_e32 v96, 0xb8d2, v107
	v_fma_f16 v91, v87, 0x3b76, -v91
	v_add_f16_e32 v83, v83, v95
	v_fmamk_f16 v95, v87, 0xb8d2, v92
	v_sub_f16_e32 v108, v67, v59
	v_add_f16_e32 v113, v59, v67
	v_add_f16_e32 v73, v99, v73
	v_fmamk_f16 v99, v88, 0x3a62, v96
	v_add_f16_e32 v44, v91, v44
	v_add_f16_e32 v81, v95, v81
	;; [unrolled: 1-line block ×3, first 2 shown]
	v_mul_f16_e32 v134, 0xb836, v108
	v_fma_f16 v95, v87, 0xb8d2, -v92
	v_fmac_f16_e32 v96, 0xba62, v88
	v_sub_f16_e32 v92, v39, v34
	v_mul_f16_e32 v139, 0xbacd, v113
	v_mul_f16_e32 v141, 0x3bf7, v108
	v_fmac_f16_e32 v100, 0xb5c8, v88
	v_add_f16_e32 v79, v99, v79
	v_fma_f16 v99, v91, 0xbacd, -v134
	v_add_f16_e32 v76, v95, v76
	v_add_f16_e32 v77, v96, v77
	v_fmamk_f16 v95, v92, 0xb836, v139
	v_mul_f16_e32 v143, 0x2de8, v113
	v_fma_f16 v96, v91, 0x2de8, -v141
	v_mul_f16_e32 v148, 0xb964, v108
	v_mul_f16_e32 v151, 0x39e9, v113
	v_add_f16_e32 v80, v100, v80
	v_add_f16_e32 v41, v99, v41
	;; [unrolled: 1-line block ×3, first 2 shown]
	v_fmamk_f16 v95, v92, 0x3bf7, v143
	v_add_f16_e32 v43, v96, v43
	v_fma_f16 v96, v91, 0x39e9, -v148
	v_mul_f16_e32 v99, 0xb1e1, v108
	v_fmamk_f16 v100, v92, 0xb964, v151
	v_add_f16_e32 v45, v95, v45
	v_mul_f16_e32 v95, 0xbbdd, v113
	v_add_f16_e32 v46, v96, v46
	v_fmamk_f16 v96, v91, 0xbbdd, v99
	v_add_f16_e32 v82, v100, v82
	v_mul_f16_e32 v100, 0x3b29, v108
	v_fmamk_f16 v111, v92, 0x31e1, v95
	v_fma_f16 v99, v91, 0xbbdd, -v99
	v_add_f16_e32 v73, v96, v73
	v_add_f16_e32 v121, v60, v69
	v_fmamk_f16 v96, v91, 0x3722, v100
	v_fmac_f16_e32 v95, 0xb1e1, v92
	v_add_f16_e32 v83, v111, v83
	v_add_f16_e32 v44, v99, v44
	v_mul_f16_e32 v99, 0x3722, v113
	v_add_f16_e32 v81, v96, v81
	v_sub_f16_e32 v111, v69, v60
	v_sub_f16_e32 v96, v40, v33
	v_mul_f16_e32 v144, 0xb8d2, v121
	v_add_f16_e32 v80, v95, v80
	v_fmamk_f16 v120, v92, 0xbb29, v99
	v_add_f16_e32 v95, v33, v40
	v_fmac_f16_e32 v99, 0x3b29, v92
	v_fmamk_f16 v125, v96, 0x3a62, v144
	v_mul_f16_e32 v147, 0xb5c8, v111
	v_mul_f16_e32 v140, 0x3a62, v111
	v_fma_f16 v100, v91, 0x3722, -v100
	v_add_f16_e32 v77, v99, v77
	v_add_f16_e32 v156, v125, v42
	v_fma_f16 v42, v95, 0x3b76, -v147
	v_mul_f16_e32 v150, 0x3b76, v121
	v_mul_f16_e32 v152, 0xb1e1, v111
	;; [unrolled: 1-line block ×3, first 2 shown]
	v_add_f16_e32 v79, v120, v79
	v_fma_f16 v120, v95, 0xb8d2, -v140
	v_add_f16_e32 v76, v100, v76
	v_mul_f16_e32 v155, 0xbbdd, v121
	v_add_f16_e32 v43, v42, v43
	v_fmamk_f16 v42, v96, 0xb5c8, v150
	v_fma_f16 v100, v95, 0xbbdd, -v152
	v_fmamk_f16 v125, v95, 0x39e9, v99
	v_mul_f16_e32 v146, 0x39e9, v121
	v_mul_f16_e32 v154, 0xb461, v121
	v_add_f16_e32 v41, v120, v41
	v_fmamk_f16 v120, v96, 0xb1e1, v155
	v_add_f16_e32 v45, v42, v45
	v_add_f16_e32 v46, v100, v46
	;; [unrolled: 1-line block ×3, first 2 shown]
	v_fmamk_f16 v42, v96, 0xb964, v146
	v_mul_f16_e32 v100, 0xbbb2, v111
	v_fmamk_f16 v125, v96, 0x3bb2, v154
	v_add_f16_e32 v82, v120, v82
	v_fma_f16 v99, v95, 0x39e9, -v99
	v_fmac_f16_e32 v146, 0x3964, v96
	v_add_f16_e32 v83, v42, v83
	v_fmamk_f16 v42, v95, 0xb461, v100
	v_sub_f16_e32 v120, v66, v63
	v_add_f16_e32 v161, v125, v79
	v_add_f16_e32 v125, v63, v66
	;; [unrolled: 1-line block ×6, first 2 shown]
	v_mul_f16_e32 v146, 0x3964, v120
	v_fma_f16 v42, v95, 0xb461, -v100
	v_sub_f16_e32 v100, v37, v38
	v_mul_f16_e32 v149, 0x39e9, v125
	v_fmac_f16_e32 v154, 0xbbb2, v96
	v_fma_f16 v44, v99, 0x39e9, -v146
	v_mul_f16_e32 v153, 0xba62, v120
	v_add_f16_e32 v162, v42, v76
	v_fmamk_f16 v76, v100, 0x3964, v149
	v_add_f16_e32 v163, v154, v77
	v_add_f16_e32 v42, v44, v41
	v_fma_f16 v41, v99, 0xb8d2, -v153
	v_mul_f16_e32 v154, 0xb8d2, v125
	v_add_f16_e32 v80, v76, v156
	v_mul_f16_e32 v156, 0x3b29, v120
	v_mul_f16_e32 v157, 0x3722, v125
	v_add_f16_e32 v41, v41, v43
	v_fmamk_f16 v43, v100, 0xba62, v154
	v_mul_f16_e32 v76, 0xbbb2, v120
	v_fma_f16 v44, v99, 0x3722, -v156
	v_fmamk_f16 v77, v100, 0x3b29, v157
	v_mul_f16_e32 v81, 0xb461, v125
	v_add_f16_e32 v79, v43, v45
	v_fmamk_f16 v43, v99, 0xb461, v76
	v_add_f16_e32 v44, v44, v46
	v_add_f16_e32 v77, v77, v82
	v_fmamk_f16 v45, v100, 0x3bb2, v81
	v_fma_f16 v46, v99, 0xb461, -v76
	v_mul_f16_e32 v82, 0x3bf7, v120
	v_mul_f16_e32 v164, 0x2de8, v125
	v_add_f16_e32 v73, v43, v73
	v_add_f16_e32 v76, v45, v83
	;; [unrolled: 1-line block ×3, first 2 shown]
	v_fmac_f16_e32 v81, 0xbbb2, v100
	v_fmamk_f16 v45, v99, 0x2de8, v82
	v_fmamk_f16 v46, v100, 0xbbf7, v164
	v_fma_f16 v82, v99, 0x2de8, -v82
	v_fmac_f16_e32 v164, 0x3bf7, v100
	v_add_f16_e32 v81, v81, v159
	v_add_f16_e32 v45, v45, v160
	;; [unrolled: 1-line block ×5, first 2 shown]
	s_barrier
	buffer_gl0_inv
	s_and_saveexec_b32 s1, vcc_lo
	s_cbranch_execz .LBB0_17
; %bb.16:
	v_mul_f16_e32 v163, 0xba62, v71
	v_mul_f16_e32 v169, 0x3bb2, v74
	;; [unrolled: 1-line block ×5, first 2 shown]
	v_sub_f16_e32 v116, v116, v163
	v_sub_f16_e32 v126, v126, v169
	v_mul_f16_e32 v181, 0xb836, v85
	v_add_f16_e32 v114, v162, v114
	v_mul_f16_e32 v174, 0x3b76, v75
	v_add_f16_sdwa v116, v116, v29 dst_sel:DWORD dst_unused:UNUSED_PAD src0_sel:DWORD src1_sel:WORD_1
	v_mul_f16_e32 v187, 0x3bf7, v88
	v_add_f16_e32 v122, v168, v122
	v_add_f16_e32 v114, v114, v29
	v_mul_f16_e32 v180, 0xbacd, v84
	v_add_f16_e32 v116, v126, v116
	v_sub_f16_e32 v126, v133, v175
	v_mul_f16_e32 v191, 0xb964, v92
	v_add_f16_e32 v114, v122, v114
	v_add_f16_e32 v122, v174, v130
	v_mul_f16_e32 v161, 0xbbb2, v71
	v_add_f16_e32 v116, v126, v116
	v_sub_f16_e32 v126, v137, v181
	v_mul_f16_e32 v186, 0x2de8, v87
	v_mul_f16_e32 v137, 0xb1e1, v96
	v_add_f16_e32 v114, v122, v114
	v_add_f16_e32 v122, v180, v136
	;; [unrolled: 1-line block ×3, first 2 shown]
	v_sub_f16_e32 v126, v145, v187
	v_mul_f16_e32 v160, 0xb461, v70
	v_mul_f16_e32 v167, 0x3836, v74
	;; [unrolled: 1-line block ×4, first 2 shown]
	v_add_f16_e32 v116, v126, v116
	v_sub_f16_e32 v126, v151, v191
	v_sub_f16_e32 v109, v109, v161
	v_add_f16_e32 v114, v122, v114
	v_add_f16_e32 v122, v186, v142
	v_mul_f16_e32 v166, 0xbacd, v72
	v_add_f16_e32 v116, v126, v116
	v_sub_f16_e32 v126, v155, v137
	v_mul_f16_e32 v173, 0x3964, v78
	v_mul_f16_e32 v194, 0xbbdd, v95
	v_sub_f16_e32 v117, v117, v167
	v_add_f16_e32 v114, v122, v114
	v_add_f16_e32 v116, v126, v116
	v_sub_f16_e32 v126, v157, v136
	v_add_f16_sdwa v136, v109, v29 dst_sel:DWORD dst_unused:UNUSED_PAD src0_sel:DWORD src1_sel:WORD_1
	v_add_f16_e32 v122, v169, v148
	v_add_f16_e32 v106, v160, v106
	v_mul_f16_e32 v172, 0x39e9, v75
	v_mul_f16_e32 v179, 0xbb29, v85
	;; [unrolled: 1-line block ×3, first 2 shown]
	v_add_f16_e32 v109, v126, v116
	v_add_f16_e32 v116, v117, v136
	v_sub_f16_e32 v117, v124, v173
	v_add_f16_e32 v114, v122, v114
	v_add_f16_e32 v122, v194, v152
	;; [unrolled: 1-line block ×4, first 2 shown]
	v_mul_f16_e32 v159, 0xbbf7, v71
	v_mul_f16_e32 v178, 0x3722, v84
	;; [unrolled: 1-line block ×3, first 2 shown]
	v_add_f16_e32 v116, v117, v116
	v_sub_f16_e32 v117, v131, v179
	v_add_f16_e32 v114, v122, v114
	v_add_f16_e32 v122, v151, v156
	;; [unrolled: 1-line block ×4, first 2 shown]
	v_mul_f16_e32 v165, 0xb1e1, v74
	v_mul_f16_e32 v184, 0xbbdd, v87
	v_mul_f16_e32 v190, 0x3bf7, v92
	v_add_f16_e32 v116, v117, v116
	v_sub_f16_e32 v117, v138, v185
	v_add_f16_e32 v106, v122, v114
	v_sub_f16_e32 v104, v104, v159
	v_add_f16_e32 v114, v123, v115
	v_add_f16_e32 v115, v178, v129
	v_mul_f16_e32 v171, 0x3bb2, v78
	v_mul_f16_e32 v189, 0x2de8, v91
	;; [unrolled: 1-line block ×3, first 2 shown]
	v_add_f16_e32 v116, v117, v116
	v_sub_f16_e32 v117, v143, v190
	v_add_f16_sdwa v104, v104, v29 dst_sel:DWORD dst_unused:UNUSED_PAD src0_sel:DWORD src1_sel:WORD_1
	v_sub_f16_e32 v110, v110, v165
	v_add_f16_e32 v114, v115, v114
	v_add_f16_e32 v115, v184, v135
	v_mul_f16_e32 v158, 0x2de8, v70
	v_mul_f16_e32 v177, 0x35c8, v85
	v_mul_f16_e32 v133, 0x3b76, v95
	v_mul_f16_e32 v130, 0xba62, v100
	v_add_f16_e32 v116, v117, v116
	v_sub_f16_e32 v117, v150, v175
	v_add_f16_e32 v104, v110, v104
	v_sub_f16_e32 v110, v118, v171
	v_add_f16_e32 v114, v115, v114
	v_add_f16_e32 v115, v189, v141
	v_mul_f16_e32 v164, 0xbbdd, v72
	v_mul_f16_e32 v183, 0xbb29, v88
	;; [unrolled: 1-line block ×3, first 2 shown]
	v_add_f16_e32 v116, v117, v116
	v_sub_f16_e32 v117, v154, v130
	v_add_f16_e32 v110, v110, v104
	v_sub_f16_e32 v118, v127, v177
	v_add_f16_e32 v114, v115, v114
	v_add_f16_e32 v115, v133, v147
	;; [unrolled: 1-line block ×3, first 2 shown]
	v_mul_f16_e32 v170, 0xb461, v75
	v_mul_f16_e32 v188, 0xb836, v92
	v_add_f16_e32 v104, v117, v116
	v_add_f16_e32 v110, v118, v110
	v_sub_f16_e32 v116, v132, v183
	v_add_f16_e32 v114, v115, v114
	v_add_f16_e32 v115, v168, v153
	v_add_f16_e32 v117, v101, v29
	v_add_f16_e32 v105, v164, v105
	v_mul_f16_e32 v176, 0x3b76, v84
	v_mul_f16_e32 v193, 0x3a62, v96
	v_add_f16_e32 v110, v116, v110
	v_sub_f16_e32 v116, v139, v188
	v_add_f16_e32 v101, v115, v114
	v_mul_f16_e32 v114, 0x3722, v89
	v_add_f16_e32 v105, v105, v117
	v_add_f16_e32 v112, v170, v112
	v_mul_f16_e32 v182, 0x3722, v87
	v_add_f16_e32 v110, v116, v110
	v_sub_f16_e32 v115, v144, v193
	v_fmamk_f16 v116, v71, 0x3b29, v114
	v_mul_f16_e32 v117, 0xb8d2, v93
	v_add_f16_e32 v105, v112, v105
	v_add_f16_e32 v112, v176, v119
	v_mul_f16_e32 v163, 0xbacd, v91
	v_mul_f16_e32 v145, 0x3964, v100
	v_add_f16_e32 v110, v115, v110
	v_add_f16_sdwa v115, v116, v29 dst_sel:DWORD dst_unused:UNUSED_PAD src0_sel:DWORD src1_sel:WORD_1
	v_fmamk_f16 v116, v74, 0x3a62, v117
	v_mul_f16_e32 v118, 0xbbdd, v97
	v_add_f16_e32 v105, v112, v105
	v_add_f16_e32 v112, v182, v128
	v_mul_f16_e32 v192, 0xb8d2, v95
	v_sub_f16_e32 v119, v149, v145
	v_add_f16_e32 v115, v116, v115
	v_fmamk_f16 v116, v78, 0xb1e1, v118
	v_mul_f16_e32 v122, 0xb461, v102
	v_add_f16_e32 v105, v112, v105
	v_add_f16_e32 v112, v163, v134
	;; [unrolled: 1-line block ×4, first 2 shown]
	v_fmamk_f16 v116, v85, 0xbbb2, v122
	v_mul_f16_e32 v119, 0x39e9, v107
	v_add_f16_e32 v105, v112, v105
	v_add_f16_e32 v112, v192, v140
	v_mul_f16_e32 v123, 0xbb29, v86
	v_add_f16_e32 v115, v116, v115
	v_fmamk_f16 v116, v88, 0xb964, v119
	v_mul_f16_e32 v124, 0x3b76, v113
	v_add_f16_e32 v105, v112, v105
	v_fmamk_f16 v112, v70, 0x3722, v123
	v_mul_f16_e32 v126, 0xba62, v90
	v_mul_f16_e32 v162, 0x39e9, v99
	v_add_f16_e32 v115, v116, v115
	v_fmamk_f16 v116, v92, 0x35c8, v124
	v_mul_f16_e32 v127, 0x2de8, v121
	v_add_f16_e32 v112, v112, v29
	v_fmamk_f16 v128, v72, 0xb8d2, v126
	v_mul_f16_e32 v129, 0x31e1, v94
	v_add_f16_e32 v130, v162, v146
	v_add_f16_e32 v115, v116, v115
	v_fmamk_f16 v116, v96, 0x3bf7, v127
	v_add_f16_e32 v112, v128, v112
	v_fmamk_f16 v128, v75, 0xbbdd, v129
	v_mul_f16_e32 v131, 0x3bb2, v98
	v_add_f16_e32 v105, v130, v105
	v_add_f16_e32 v115, v116, v115
	v_mul_f16_e32 v116, 0x39e9, v89
	v_add_f16_e32 v112, v128, v112
	v_fmamk_f16 v128, v84, 0xb461, v131
	v_mul_f16_e32 v130, 0x3964, v103
	v_mul_f16_e32 v134, 0x2de8, v93
	v_fmamk_f16 v133, v71, 0x3964, v116
	v_mul_f16_e32 v135, 0xb5c8, v108
	v_add_f16_e32 v112, v128, v112
	v_fmamk_f16 v128, v87, 0x39e9, v130
	v_fmamk_f16 v136, v74, 0x3bf7, v134
	v_add_f16_sdwa v133, v133, v29 dst_sel:DWORD dst_unused:UNUSED_PAD src0_sel:DWORD src1_sel:WORD_1
	v_mul_f16_e32 v137, 0xb8d2, v97
	v_mul_f16_e32 v138, 0xbbf7, v111
	v_add_f16_e32 v112, v128, v112
	v_fmamk_f16 v128, v91, 0x3b76, v135
	v_mul_f16_e32 v132, 0xbacd, v125
	v_add_f16_e32 v133, v136, v133
	v_fmamk_f16 v136, v78, 0x3a62, v137
	;; [unrolled: 3-line block ×3, first 2 shown]
	v_fmamk_f16 v140, v100, 0x3836, v132
	v_add_f16_e32 v133, v136, v133
	v_fmamk_f16 v136, v85, 0x31e1, v139
	v_mul_f16_e32 v141, 0xbacd, v107
	v_add_f16_e32 v112, v128, v112
	v_mul_f16_e32 v128, 0xb964, v86
	v_add_f16_e32 v115, v140, v115
	v_add_f16_e32 v133, v136, v133
	v_fmamk_f16 v136, v88, 0xb836, v141
	v_mul_f16_e32 v140, 0xb461, v113
	v_fmamk_f16 v143, v70, 0x39e9, v128
	v_mul_f16_e32 v144, 0xbbf7, v90
	v_mul_f16_e32 v145, 0x3722, v121
	v_add_f16_e32 v133, v136, v133
	v_fmamk_f16 v136, v92, 0xbbb2, v140
	v_add_f16_e32 v143, v143, v29
	v_fmamk_f16 v146, v72, 0x2de8, v144
	v_mul_f16_e32 v147, 0xba62, v94
	v_mul_f16_e32 v149, 0xb1e1, v98
	v_add_f16_e32 v133, v136, v133
	v_fmamk_f16 v136, v96, 0xbb29, v145
	v_add_f16_e32 v143, v146, v143
	v_fmamk_f16 v146, v75, 0xb8d2, v147
	v_mul_f16_e32 v89, 0x3b76, v89
	v_mul_f16_e32 v142, 0xb836, v120
	v_add_f16_e32 v133, v136, v133
	v_mul_f16_e32 v93, 0x39e9, v93
	v_add_f16_e32 v136, v146, v143
	v_fmamk_f16 v143, v84, 0xbbdd, v149
	v_mul_f16_e32 v146, 0x3836, v103
	v_fmamk_f16 v150, v71, 0x35c8, v89
	v_fmamk_f16 v148, v99, 0xbacd, v142
	v_mul_f16_e32 v151, 0x3bb2, v108
	v_add_f16_e32 v136, v143, v136
	v_fmamk_f16 v143, v87, 0xbacd, v146
	v_add_f16_sdwa v150, v150, v29 dst_sel:DWORD dst_unused:UNUSED_PAD src0_sel:DWORD src1_sel:WORD_1
	v_fmamk_f16 v152, v74, 0x3964, v93
	v_mul_f16_e32 v97, 0x3722, v97
	v_add_f16_e32 v112, v148, v112
	v_mul_f16_e32 v148, 0x3b76, v125
	v_add_f16_e32 v136, v143, v136
	v_fmamk_f16 v143, v91, 0xb461, v151
	v_mul_f16_e32 v153, 0x3b29, v111
	v_add_f16_e32 v150, v152, v150
	v_fmamk_f16 v152, v78, 0x3b29, v97
	v_mul_f16_e32 v102, 0x2de8, v102
	v_fmamk_f16 v154, v100, 0xb5c8, v148
	v_add_f16_e32 v136, v143, v136
	v_fmamk_f16 v143, v95, 0x3722, v153
	v_add_f16_e32 v150, v152, v150
	v_fmamk_f16 v152, v85, 0x3bf7, v102
	v_mul_f16_e32 v107, 0xb461, v107
	v_mul_f16_e32 v86, 0xb5c8, v86
	v_add_f16_e32 v133, v154, v133
	v_add_f16_e32 v136, v143, v136
	;; [unrolled: 1-line block ×3, first 2 shown]
	v_fmamk_f16 v150, v88, 0x3bb2, v107
	v_mul_f16_e32 v113, 0xb8d2, v113
	v_fmamk_f16 v154, v70, 0x3b76, v86
	v_mul_f16_e32 v90, 0xb964, v90
	v_mul_f16_e32 v121, 0xbacd, v121
	v_add_f16_e32 v143, v150, v143
	v_fmamk_f16 v150, v92, 0x3a62, v113
	v_add_f16_e32 v154, v154, v29
	v_fmamk_f16 v155, v72, 0x39e9, v90
	v_mul_f16_e32 v94, 0xbb29, v94
	v_fmac_f16_e32 v114, 0xbb29, v71
	v_add_f16_e32 v143, v150, v143
	v_fmamk_f16 v150, v96, 0x3836, v121
	v_add_f16_e32 v154, v155, v154
	v_fmamk_f16 v155, v75, 0x3722, v94
	v_mul_f16_e32 v98, 0xbbf7, v98
	v_add_f16_sdwa v114, v114, v29 dst_sel:DWORD dst_unused:UNUSED_PAD src0_sel:DWORD src1_sel:WORD_1
	v_fmac_f16_e32 v117, 0xba62, v74
	v_add_f16_e32 v143, v150, v143
	v_add_f16_e32 v150, v155, v154
	v_fmamk_f16 v154, v84, 0x2de8, v98
	v_mul_f16_e32 v103, 0xbbb2, v103
	v_add_f16_e32 v114, v117, v114
	v_fmac_f16_e32 v118, 0x31e1, v78
	v_fma_f16 v123, v70, 0x3722, -v123
	v_add_f16_e32 v150, v154, v150
	v_fmamk_f16 v154, v87, 0xb461, v103
	v_mul_f16_e32 v108, 0xba62, v108
	v_add_f16_e32 v114, v118, v114
	v_fmac_f16_e32 v122, 0x3bb2, v85
	v_add_f16_e32 v118, v123, v29
	v_fma_f16 v123, v72, 0xb8d2, -v126
	v_add_f16_e32 v150, v154, v150
	v_fmamk_f16 v154, v91, 0xb8d2, v108
	v_mul_f16_e32 v111, 0xb836, v111
	v_add_f16_e32 v114, v122, v114
	v_fmac_f16_e32 v119, 0x3964, v88
	v_add_f16_e32 v118, v123, v118
	v_fma_f16 v122, v75, 0xbbdd, -v129
	v_mul_f16_e32 v152, 0x35c8, v120
	v_add_f16_e32 v126, v154, v150
	v_fmamk_f16 v123, v95, 0xbacd, v111
	v_mul_f16_e32 v120, 0xb1e1, v120
	v_add_f16_e32 v114, v119, v114
	v_add_f16_e32 v118, v122, v118
	v_fma_f16 v119, v84, 0xb461, -v131
	v_add_f16_e32 v122, v123, v126
	v_fmamk_f16 v123, v99, 0xbbdd, v120
	v_fmac_f16_e32 v124, 0xb5c8, v92
	v_add_f16_sdwa v61, v61, v29 dst_sel:DWORD dst_unused:UNUSED_PAD src0_sel:DWORD src1_sel:WORD_1
	v_add_f16_e32 v118, v119, v118
	v_fma_f16 v119, v87, 0x39e9, -v130
	v_add_f16_e32 v122, v123, v122
	v_fma_f16 v123, v70, 0x39e9, -v128
	;; [unrolled: 2-line block ×4, first 2 shown]
	v_add_f16_e32 v123, v123, v29
	v_add_f16_e32 v30, v30, v29
	;; [unrolled: 1-line block ×3, first 2 shown]
	v_fma_f16 v62, v87, 0xbacd, -v146
	v_add_f16_e32 v118, v119, v118
	v_fma_f16 v119, v95, 0x2de8, -v138
	v_add_f16_e32 v123, v124, v123
	;; [unrolled: 2-line block ×3, first 2 shown]
	v_add_f16_e32 v61, v64, v61
	v_add_f16_e32 v118, v119, v118
	v_fma_f16 v119, v99, 0xbacd, -v142
	v_fmac_f16_e32 v89, 0xb5c8, v71
	v_add_f16_e32 v30, v32, v30
	v_fma_f16 v32, v91, 0xb461, -v151
	v_add_f16_e32 v61, v65, v61
	v_add_f16_e32 v118, v119, v118
	;; [unrolled: 1-line block ×3, first 2 shown]
	v_fma_f16 v123, v84, 0xbbdd, -v149
	v_add_f16_e32 v30, v35, v30
	v_fmac_f16_e32 v93, 0xb964, v74
	v_fmac_f16_e32 v116, 0xb964, v71
	;; [unrolled: 1-line block ×3, first 2 shown]
	v_add_f16_e32 v31, v123, v119
	v_add_f16_e32 v30, v36, v30
	v_fma_f16 v36, v95, 0x3722, -v153
	v_add_f16_sdwa v116, v116, v29 dst_sel:DWORD dst_unused:UNUSED_PAD src0_sel:DWORD src1_sel:WORD_1
	v_fmac_f16_e32 v134, 0xbbf7, v74
	v_add_f16_e32 v31, v62, v31
	v_add_f16_e32 v30, v39, v30
	v_add_f16_sdwa v39, v89, v29 dst_sel:DWORD dst_unused:UNUSED_PAD src0_sel:DWORD src1_sel:WORD_1
	v_fmac_f16_e32 v102, 0xbbf7, v85
	v_add_f16_e32 v116, v134, v116
	v_add_f16_e32 v31, v32, v31
	;; [unrolled: 1-line block ×4, first 2 shown]
	v_fmac_f16_e32 v137, 0xba62, v78
	v_fmac_f16_e32 v107, 0xbbb2, v88
	v_add_f16_e32 v31, v36, v31
	v_add_f16_e32 v32, v67, v32
	v_add_f16_e32 v30, v37, v30
	v_fma_f16 v36, v99, 0x3b76, -v152
	v_add_f16_e32 v37, v93, v39
	v_add_f16_e32 v116, v137, v116
	;; [unrolled: 1-line block ×5, first 2 shown]
	v_fma_f16 v36, v70, 0x3b76, -v86
	v_add_f16_e32 v37, v97, v37
	v_add_f16_e32 v32, v66, v32
	;; [unrolled: 1-line block ×3, first 2 shown]
	v_fma_f16 v33, v75, 0x3722, -v94
	v_add_f16_e32 v29, v36, v29
	v_fma_f16 v36, v72, 0x39e9, -v90
	v_add_f16_e32 v32, v63, v32
	v_add_f16_e32 v30, v34, v30
	v_fmac_f16_e32 v139, 0xb1e1, v85
	v_fmac_f16_e32 v113, 0xba62, v92
	v_add_f16_e32 v29, v36, v29
	v_add_f16_e32 v32, v60, v32
	;; [unrolled: 1-line block ×7, first 2 shown]
	v_fma_f16 v33, v84, 0x2de8, -v98
	v_add_f16_e32 v30, v107, v36
	v_add_f16_e32 v27, v28, v27
	v_fmac_f16_e32 v141, 0x3836, v88
	v_add_f16_e32 v32, v58, v32
	v_add_f16_e32 v29, v33, v29
	v_fma_f16 v28, v87, 0xb461, -v103
	v_add_f16_e32 v30, v113, v30
	v_fmac_f16_e32 v121, 0xb836, v96
	v_add_f16_e32 v32, v57, v32
	v_add_f16_e32 v21, v21, v27
	v_mul_f16_e32 v125, 0xbbdd, v125
	v_add_f16_e32 v116, v141, v116
	v_fmac_f16_e32 v140, 0x3bb2, v92
	v_add_f16_e32 v32, v53, v32
	v_add_f16_e32 v27, v28, v29
	v_fma_f16 v28, v91, 0xb8d2, -v108
	v_add_f16_e32 v29, v121, v30
	v_add_f16_e32 v21, v22, v21
	;; [unrolled: 1-line block ×3, first 2 shown]
	v_fmamk_f16 v156, v99, 0x3b76, v152
	v_fmamk_f16 v117, v100, 0x31e1, v125
	v_fmac_f16_e32 v127, 0xbbf7, v96
	v_add_f16_e32 v116, v140, v116
	v_fmac_f16_e32 v145, 0x3b29, v96
	v_add_f16_e32 v22, v28, v27
	v_fma_f16 v27, v95, 0xbacd, -v111
	v_add_f16_sdwa v28, v51, v30 dst_sel:WORD_1 dst_unused:UNUSED_PAD src0_sel:DWORD src1_sel:DWORD
	v_add_f16_e32 v21, v50, v21
	v_mov_b32_e32 v30, 2
	v_add_f16_e32 v136, v156, v136
	v_add_f16_e32 v117, v117, v143
	;; [unrolled: 1-line block ×3, first 2 shown]
	v_fmac_f16_e32 v132, 0xb836, v100
	v_add_f16_e32 v35, v145, v116
	v_fmac_f16_e32 v148, 0x35c8, v100
	v_fmac_f16_e32 v125, 0xb1e1, v100
	v_add_f16_e32 v22, v27, v22
	v_fma_f16 v27, v99, 0xbbdd, -v120
	v_or_b32_sdwa v21, v28, v21 dst_sel:DWORD dst_unused:UNUSED_PAD src0_sel:DWORD src1_sel:WORD_0
	v_lshlrev_b32_sdwa v28, v30, v49 dst_sel:DWORD dst_unused:UNUSED_PAD src0_sel:DWORD src1_sel:WORD_0
	v_pack_b32_f16 v30, v136, v133
	v_pack_b32_f16 v32, v122, v117
	;; [unrolled: 1-line block ×4, first 2 shown]
	v_add_f16_e32 v114, v132, v114
	v_pack_b32_f16 v36, v106, v109
	v_pack_b32_f16 v37, v101, v104
	v_add_f16_e32 v35, v148, v35
	v_add_f16_e32 v29, v125, v29
	;; [unrolled: 1-line block ×3, first 2 shown]
	ds_write_b32 v28, v21
	ds_write2_b32 v28, v32, v30 offset0:1 offset1:2
	ds_write2_b32 v28, v34, v33 offset0:3 offset1:4
	;; [unrolled: 1-line block ×3, first 2 shown]
	v_perm_b32 v21, v83, v45, 0x5040100
	v_perm_b32 v27, v76, v73, 0x5040100
	;; [unrolled: 1-line block ×6, first 2 shown]
	v_pack_b32_f16 v36, v118, v114
	v_perm_b32 v37, v80, v42, 0x5040100
	v_pack_b32_f16 v22, v22, v29
	v_pack_b32_f16 v29, v31, v35
	ds_write2_b32 v28, v27, v21 offset0:7 offset1:8
	ds_write2_b32 v28, v32, v30 offset0:9 offset1:10
	;; [unrolled: 1-line block ×5, first 2 shown]
.LBB0_17:
	s_or_b32 exec_lo, exec_lo, s1
	v_add_nc_u32_e32 v27, 0x680, v47
	v_add_nc_u32_e32 v28, 0xd80, v47
	s_waitcnt lgkmcnt(0)
	s_barrier
	buffer_gl0_inv
	ds_read2_b32 v[21:22], v47 offset1:221
	ds_read2_b32 v[29:30], v27 offset0:26 offset1:247
	ds_read2_b32 v[27:28], v28 offset0:20 offset1:241
	ds_read_b32 v31, v47 offset:5304
	s_and_saveexec_b32 s1, s0
	s_cbranch_execz .LBB0_19
; %bb.18:
	v_add_nc_u32_e32 v32, 0x500, v47
	v_add_nc_u32_e32 v33, 0xc00, v47
	;; [unrolled: 1-line block ×3, first 2 shown]
	ds_read_b32 v73, v47 offset:476
	ds_read2_b32 v[45:46], v32 offset0:20 offset1:241
	ds_read2_b32 v[43:44], v33 offset0:14 offset1:235
	;; [unrolled: 1-line block ×3, first 2 shown]
	s_waitcnt lgkmcnt(3)
	v_lshrrev_b32_e32 v76, 16, v73
	s_waitcnt lgkmcnt(2)
	v_lshrrev_b32_e32 v83, 16, v45
	v_lshrrev_b32_e32 v82, 16, v46
	s_waitcnt lgkmcnt(1)
	v_lshrrev_b32_e32 v81, 16, v43
	;; [unrolled: 3-line block ×3, first 2 shown]
	v_lshrrev_b32_e32 v80, 16, v42
.LBB0_19:
	s_or_b32 exec_lo, exec_lo, s1
	s_waitcnt lgkmcnt(3)
	v_lshrrev_b32_e32 v32, 16, v22
	s_waitcnt lgkmcnt(2)
	v_lshrrev_b32_e32 v33, 16, v29
	v_lshrrev_b32_e32 v34, 16, v30
	v_mul_f16_sdwa v35, v4, v22 dst_sel:DWORD dst_unused:UNUSED_PAD src0_sel:WORD_1 src1_sel:DWORD
	s_waitcnt lgkmcnt(1)
	v_lshrrev_b32_e32 v36, 16, v27
	v_mul_f16_sdwa v37, v4, v32 dst_sel:DWORD dst_unused:UNUSED_PAD src0_sel:WORD_1 src1_sel:DWORD
	v_lshrrev_b32_e32 v38, 16, v28
	s_waitcnt lgkmcnt(0)
	v_lshrrev_b32_e32 v39, 16, v31
	v_fma_f16 v32, v4, v32, -v35
	v_mul_f16_sdwa v35, v5, v33 dst_sel:DWORD dst_unused:UNUSED_PAD src0_sel:WORD_1 src1_sel:DWORD
	v_fmac_f16_e32 v37, v4, v22
	v_mul_f16_sdwa v4, v5, v29 dst_sel:DWORD dst_unused:UNUSED_PAD src0_sel:WORD_1 src1_sel:DWORD
	v_mul_f16_sdwa v22, v6, v34 dst_sel:DWORD dst_unused:UNUSED_PAD src0_sel:WORD_1 src1_sel:DWORD
	;; [unrolled: 1-line block ×4, first 2 shown]
	v_fmac_f16_e32 v35, v5, v29
	v_fma_f16 v4, v5, v33, -v4
	v_fmac_f16_e32 v22, v6, v30
	v_fma_f16 v5, v6, v34, -v40
	v_mul_f16_sdwa v6, v26, v39 dst_sel:DWORD dst_unused:UNUSED_PAD src0_sel:WORD_1 src1_sel:DWORD
	v_mul_f16_sdwa v29, v26, v31 dst_sel:DWORD dst_unused:UNUSED_PAD src0_sel:WORD_1 src1_sel:DWORD
	;; [unrolled: 1-line block ×4, first 2 shown]
	v_fmac_f16_e32 v49, v7, v27
	v_mul_f16_sdwa v27, v7, v27 dst_sel:DWORD dst_unused:UNUSED_PAD src0_sel:WORD_1 src1_sel:DWORD
	v_fmac_f16_e32 v6, v26, v31
	v_fma_f16 v26, v26, v39, -v29
	v_fmac_f16_e32 v30, v25, v28
	v_fma_f16 v25, v25, v38, -v33
	v_fma_f16 v7, v7, v36, -v27
	v_add_f16_e32 v27, v37, v6
	v_add_f16_e32 v28, v32, v26
	v_sub_f16_e32 v26, v32, v26
	v_add_f16_e32 v31, v4, v25
	v_add_f16_e32 v29, v35, v30
	;; [unrolled: 1-line block ×3, first 2 shown]
	v_sub_f16_e32 v30, v35, v30
	v_sub_f16_e32 v4, v4, v25
	v_add_f16_e32 v33, v31, v28
	v_add_f16_e32 v25, v22, v49
	v_sub_f16_e32 v5, v7, v5
	v_add_f16_e32 v7, v29, v27
	v_sub_f16_e32 v35, v31, v28
	v_sub_f16_e32 v28, v28, v32
	;; [unrolled: 1-line block ×3, first 2 shown]
	v_add_f16_e32 v32, v32, v33
	v_sub_f16_e32 v22, v49, v22
	v_sub_f16_e32 v34, v29, v27
	;; [unrolled: 1-line block ×4, first 2 shown]
	v_add_f16_e32 v7, v25, v7
	v_add_f16_sdwa v25, v32, v21 dst_sel:DWORD dst_unused:UNUSED_PAD src0_sel:DWORD src1_sel:WORD_1
	v_sub_f16_e32 v6, v37, v6
	v_add_f16_e32 v33, v22, v30
	v_add_f16_e32 v36, v5, v4
	v_sub_f16_e32 v37, v22, v30
	v_sub_f16_e32 v38, v5, v4
	v_add_f16_e32 v21, v7, v21
	v_lshlrev_b32_e32 v39, 16, v25
	v_sub_f16_e32 v30, v30, v6
	v_sub_f16_e32 v4, v4, v26
	;; [unrolled: 1-line block ×4, first 2 shown]
	v_add_f16_e32 v6, v33, v6
	v_add_f16_e32 v26, v36, v26
	v_or_b32_sdwa v33, v39, v21 dst_sel:DWORD dst_unused:UNUSED_PAD src0_sel:DWORD src1_sel:WORD_0
	v_mul_f16_e32 v27, 0x3a52, v27
	v_mul_f16_e32 v28, 0x3a52, v28
	;; [unrolled: 1-line block ×8, first 2 shown]
	v_fmac_f16_e32 v21, 0xbcab, v7
	v_fmac_f16_e32 v25, 0xbcab, v32
	v_fmamk_f16 v7, v29, 0x2b26, v27
	v_fmamk_f16 v29, v31, 0x2b26, v28
	v_fma_f16 v31, v34, 0x39e0, -v36
	v_fma_f16 v32, v35, 0x39e0, -v39
	;; [unrolled: 1-line block ×4, first 2 shown]
	v_fmamk_f16 v34, v22, 0xb574, v37
	v_fmamk_f16 v35, v5, 0xb574, v38
	v_fma_f16 v30, v30, 0xbb00, -v37
	v_fma_f16 v4, v4, 0xbb00, -v38
	;; [unrolled: 1-line block ×4, first 2 shown]
	v_add_f16_e32 v7, v7, v21
	v_add_f16_e32 v29, v29, v25
	v_fmac_f16_e32 v34, 0xb70e, v6
	v_fmac_f16_e32 v35, 0xb70e, v26
	v_add_f16_e32 v31, v31, v21
	v_add_f16_e32 v32, v32, v25
	;; [unrolled: 1-line block ×4, first 2 shown]
	v_fmac_f16_e32 v30, 0xb70e, v6
	v_fmac_f16_e32 v5, 0xb70e, v26
	;; [unrolled: 1-line block ×4, first 2 shown]
	v_add_f16_e32 v6, v35, v7
	v_sub_f16_e32 v26, v29, v34
	v_add_f16_e32 v27, v5, v21
	v_sub_f16_e32 v28, v25, v22
	v_sub_f16_e32 v36, v31, v4
	v_add_f16_e32 v37, v30, v32
	v_add_f16_e32 v4, v4, v31
	v_sub_f16_e32 v30, v32, v30
	v_sub_f16_e32 v5, v21, v5
	v_add_f16_e32 v21, v22, v25
	v_sub_f16_e32 v7, v7, v35
	v_add_f16_e32 v22, v34, v29
	v_pack_b32_f16 v6, v6, v26
	v_pack_b32_f16 v25, v27, v28
	;; [unrolled: 1-line block ×6, first 2 shown]
	s_barrier
	buffer_gl0_inv
	ds_write2_b32 v56, v33, v6 offset1:17
	ds_write2_b32 v56, v25, v26 offset0:34 offset1:51
	ds_write2_b32 v56, v4, v5 offset0:68 offset1:85
	ds_write_b32 v56, v7 offset:408
	s_and_saveexec_b32 s1, s0
	s_cbranch_execz .LBB0_21
; %bb.20:
	v_mul_f16_sdwa v5, v24, v80 dst_sel:DWORD dst_unused:UNUSED_PAD src0_sel:WORD_1 src1_sel:DWORD
	v_mul_f16_sdwa v26, v24, v42 dst_sel:DWORD dst_unused:UNUSED_PAD src0_sel:WORD_1 src1_sel:DWORD
	;; [unrolled: 1-line block ×5, first 2 shown]
	v_fmac_f16_e32 v5, v24, v42
	v_mul_f16_sdwa v28, v0, v45 dst_sel:DWORD dst_unused:UNUSED_PAD src0_sel:WORD_1 src1_sel:DWORD
	v_fma_f16 v24, v24, v80, -v26
	v_mul_f16_sdwa v26, v23, v41 dst_sel:DWORD dst_unused:UNUSED_PAD src0_sel:WORD_1 src1_sel:DWORD
	v_mul_f16_sdwa v29, v1, v46 dst_sel:DWORD dst_unused:UNUSED_PAD src0_sel:WORD_1 src1_sel:DWORD
	;; [unrolled: 1-line block ×4, first 2 shown]
	v_fmac_f16_e32 v4, v0, v45
	v_fmac_f16_e32 v21, v1, v46
	;; [unrolled: 1-line block ×3, first 2 shown]
	v_fma_f16 v0, v0, v83, -v28
	v_mul_f16_sdwa v28, v2, v43 dst_sel:DWORD dst_unused:UNUSED_PAD src0_sel:WORD_1 src1_sel:DWORD
	v_mul_f16_sdwa v30, v3, v44 dst_sel:DWORD dst_unused:UNUSED_PAD src0_sel:WORD_1 src1_sel:DWORD
	v_fma_f16 v23, v23, v79, -v26
	v_fma_f16 v1, v1, v82, -v29
	v_fmac_f16_e32 v6, v3, v44
	v_fmac_f16_e32 v7, v2, v43
	v_fma_f16 v2, v2, v81, -v28
	v_fma_f16 v3, v3, v77, -v30
	v_add_f16_e32 v28, v24, v0
	v_add_f16_e32 v29, v23, v1
	v_sub_f16_e32 v25, v4, v5
	v_sub_f16_e32 v27, v6, v7
	;; [unrolled: 1-line block ×3, first 2 shown]
	v_add_f16_e32 v31, v2, v3
	v_add_f16_e32 v33, v29, v28
	;; [unrolled: 1-line block ×3, first 2 shown]
	v_sub_f16_e32 v32, v25, v27
	v_sub_f16_e32 v30, v27, v26
	v_add_f16_e32 v27, v27, v26
	v_add_f16_e32 v33, v31, v33
	;; [unrolled: 1-line block ×4, first 2 shown]
	v_sub_f16_e32 v2, v3, v2
	v_add_f16_e32 v21, v27, v25
	v_add_f16_e32 v36, v76, v33
	;; [unrolled: 1-line block ×3, first 2 shown]
	v_sub_f16_e32 v1, v1, v23
	v_sub_f16_e32 v0, v0, v24
	;; [unrolled: 1-line block ×3, first 2 shown]
	v_fmamk_f16 v7, v33, 0xbcab, v36
	v_sub_f16_e32 v33, v4, v6
	v_add_f16_e32 v27, v6, v27
	v_sub_f16_e32 v24, v2, v1
	v_sub_f16_e32 v38, v0, v2
	v_add_f16_e32 v2, v2, v1
	v_mul_f16_e32 v3, 0x3a52, v33
	v_sub_f16_e32 v6, v6, v5
	v_add_f16_e32 v23, v73, v27
	v_sub_f16_e32 v25, v26, v25
	v_mul_f16_e32 v34, 0x3a52, v34
	v_sub_f16_e32 v31, v31, v29
	v_add_f16_e32 v2, v2, v0
	v_sub_f16_e32 v0, v1, v0
	v_mul_f16_e32 v30, 0x3846, v30
	v_fmamk_f16 v37, v6, 0x2b26, v3
	v_fmamk_f16 v27, v27, 0xbcab, v23
	v_mul_f16_e32 v24, 0x3846, v24
	v_mul_f16_e32 v39, 0xbb00, v25
	v_sub_f16_e32 v28, v29, v28
	v_fmamk_f16 v22, v31, 0x2b26, v34
	v_mul_f16_e32 v31, 0x2b26, v31
	v_mul_f16_e32 v6, 0x2b26, v6
	v_sub_f16_e32 v4, v5, v4
	v_mul_f16_e32 v29, 0xbb00, v0
	v_fmamk_f16 v35, v32, 0xb574, v30
	v_add_f16_e32 v26, v37, v27
	v_fmamk_f16 v37, v38, 0xb574, v24
	v_fma_f16 v1, v32, 0x3574, -v39
	v_fma_f16 v5, v28, 0xb9e0, -v34
	;; [unrolled: 1-line block ×8, first 2 shown]
	v_fmac_f16_e32 v35, 0xb70e, v21
	v_add_f16_e32 v22, v22, v7
	v_fmac_f16_e32 v37, 0xb70e, v2
	v_fmac_f16_e32 v1, 0xb70e, v21
	v_add_f16_e32 v5, v5, v7
	v_fmac_f16_e32 v25, 0xb70e, v21
	v_mov_b32_e32 v21, 0x77
	v_add_f16_e32 v3, v3, v27
	v_fmac_f16_e32 v29, 0xb70e, v2
	v_add_f16_e32 v6, v28, v7
	v_fmac_f16_e32 v0, 0xb70e, v2
	v_add_f16_e32 v2, v4, v27
	v_add_f16_e32 v33, v35, v22
	;; [unrolled: 1-line block ×3, first 2 shown]
	v_sub_f16_e32 v1, v5, v1
	v_mul_u32_u24_sdwa v5, v54, v21 dst_sel:DWORD dst_unused:UNUSED_PAD src0_sel:WORD_0 src1_sel:DWORD
	v_sub_f16_e32 v21, v22, v35
	v_add_f16_e32 v22, v37, v26
	v_sub_f16_e32 v7, v3, v29
	v_sub_f16_e32 v24, v6, v25
	v_add_f16_e32 v27, v0, v2
	v_add_f16_e32 v6, v25, v6
	;; [unrolled: 1-line block ×3, first 2 shown]
	v_sub_f16_e32 v0, v2, v0
	v_sub_f16_e32 v32, v26, v37
	v_add_lshl_u32 v2, v5, v55, 2
	v_pack_b32_f16 v5, v23, v36
	v_pack_b32_f16 v21, v22, v21
	;; [unrolled: 1-line block ×7, first 2 shown]
	ds_write2_b32 v2, v5, v21 offset1:17
	ds_write2_b32 v2, v1, v0 offset0:34 offset1:51
	ds_write2_b32 v2, v3, v4 offset0:68 offset1:85
	ds_write_b32 v2, v6 offset:408
.LBB0_21:
	s_or_b32 exec_lo, exec_lo, s1
	s_waitcnt lgkmcnt(0)
	s_barrier
	v_add_nc_u32_e32 v0, 0x400, v47
	buffer_gl0_inv
	ds_read2_b32 v[6:7], v47 offset0:119 offset1:238
	v_add_nc_u32_e32 v5, 0x800, v47
	v_add_nc_u32_e32 v4, 0xc00, v47
	ds_read2_b32 v[21:22], v0 offset0:101 offset1:220
	v_add_nc_u32_e32 v3, 0x1000, v47
	v_add_nc_u32_e32 v2, 0x1400, v47
	ds_read2_b32 v[23:24], v5 offset0:83 offset1:202
	ds_read2_b32 v[25:26], v4 offset0:65 offset1:184
	;; [unrolled: 1-line block ×4, first 2 shown]
	ds_read_b32 v31, v47
	s_waitcnt lgkmcnt(6)
	v_lshrrev_b32_e32 v1, 16, v6
	v_lshrrev_b32_e32 v32, 16, v7
	v_mul_f16_sdwa v43, v16, v6 dst_sel:DWORD dst_unused:UNUSED_PAD src0_sel:WORD_1 src1_sel:DWORD
	s_waitcnt lgkmcnt(5)
	v_lshrrev_b32_e32 v33, 16, v21
	v_lshrrev_b32_e32 v34, 16, v22
	v_mul_f16_sdwa v42, v16, v1 dst_sel:DWORD dst_unused:UNUSED_PAD src0_sel:WORD_1 src1_sel:DWORD
	v_mul_f16_sdwa v45, v17, v7 dst_sel:DWORD dst_unused:UNUSED_PAD src0_sel:WORD_1 src1_sel:DWORD
	s_waitcnt lgkmcnt(4)
	v_lshrrev_b32_e32 v35, 16, v23
	v_mul_f16_sdwa v44, v17, v32 dst_sel:DWORD dst_unused:UNUSED_PAD src0_sel:WORD_1 src1_sel:DWORD
	v_fma_f16 v1, v16, v1, -v43
	v_fmac_f16_e32 v42, v16, v6
	v_fma_f16 v32, v17, v32, -v45
	v_mul_f16_sdwa v43, v18, v33 dst_sel:DWORD dst_unused:UNUSED_PAD src0_sel:WORD_1 src1_sel:DWORD
	v_mul_f16_sdwa v6, v18, v21 dst_sel:DWORD dst_unused:UNUSED_PAD src0_sel:WORD_1 src1_sel:DWORD
	v_mul_f16_sdwa v45, v19, v34 dst_sel:DWORD dst_unused:UNUSED_PAD src0_sel:WORD_1 src1_sel:DWORD
	v_lshrrev_b32_e32 v36, 16, v24
	v_fmac_f16_e32 v44, v17, v7
	v_mul_f16_sdwa v7, v19, v22 dst_sel:DWORD dst_unused:UNUSED_PAD src0_sel:WORD_1 src1_sel:DWORD
	v_mul_f16_sdwa v16, v12, v35 dst_sel:DWORD dst_unused:UNUSED_PAD src0_sel:WORD_1 src1_sel:DWORD
	v_fmac_f16_e32 v43, v18, v21
	v_fma_f16 v21, v18, v33, -v6
	v_fmac_f16_e32 v45, v19, v22
	s_waitcnt lgkmcnt(0)
	v_add_f16_e32 v18, v42, v31
	v_add_f16_sdwa v22, v1, v31 dst_sel:DWORD dst_unused:UNUSED_PAD src0_sel:DWORD src1_sel:WORD_1
	v_lshrrev_b32_e32 v37, 16, v25
	v_fma_f16 v19, v19, v34, -v7
	v_fmac_f16_e32 v16, v12, v23
	v_mul_f16_sdwa v7, v12, v23 dst_sel:DWORD dst_unused:UNUSED_PAD src0_sel:WORD_1 src1_sel:DWORD
	v_mul_f16_sdwa v6, v13, v36 dst_sel:DWORD dst_unused:UNUSED_PAD src0_sel:WORD_1 src1_sel:DWORD
	;; [unrolled: 1-line block ×3, first 2 shown]
	v_add_f16_e32 v18, v18, v44
	v_add_f16_e32 v22, v22, v32
	v_fma_f16 v17, v12, v35, -v7
	v_fmac_f16_e32 v6, v13, v24
	v_fma_f16 v12, v13, v36, -v23
	v_mul_f16_sdwa v7, v14, v37 dst_sel:DWORD dst_unused:UNUSED_PAD src0_sel:WORD_1 src1_sel:DWORD
	v_mul_f16_sdwa v13, v14, v25 dst_sel:DWORD dst_unused:UNUSED_PAD src0_sel:WORD_1 src1_sel:DWORD
	v_add_f16_e32 v23, v18, v43
	v_add_f16_e32 v22, v22, v21
	v_lshrrev_b32_e32 v38, 16, v26
	v_fmac_f16_e32 v7, v14, v25
	v_fma_f16 v13, v14, v37, -v13
	v_add_f16_e32 v14, v23, v45
	v_add_f16_e32 v22, v22, v19
	v_lshrrev_b32_e32 v39, 16, v27
	v_lshrrev_b32_e32 v40, 16, v28
	v_mul_f16_sdwa v18, v15, v38 dst_sel:DWORD dst_unused:UNUSED_PAD src0_sel:WORD_1 src1_sel:DWORD
	v_add_f16_e32 v14, v14, v16
	v_add_f16_e32 v22, v22, v17
	v_mul_f16_sdwa v23, v15, v26 dst_sel:DWORD dst_unused:UNUSED_PAD src0_sel:WORD_1 src1_sel:DWORD
	v_mul_f16_sdwa v24, v8, v39 dst_sel:DWORD dst_unused:UNUSED_PAD src0_sel:WORD_1 src1_sel:DWORD
	;; [unrolled: 1-line block ×3, first 2 shown]
	v_add_f16_e32 v14, v14, v6
	v_add_f16_e32 v22, v22, v12
	v_fmac_f16_e32 v18, v15, v26
	v_fma_f16 v15, v15, v38, -v23
	v_fmac_f16_e32 v24, v8, v27
	v_fma_f16 v8, v8, v39, -v25
	v_mul_f16_sdwa v23, v9, v40 dst_sel:DWORD dst_unused:UNUSED_PAD src0_sel:WORD_1 src1_sel:DWORD
	v_mul_f16_sdwa v25, v9, v28 dst_sel:DWORD dst_unused:UNUSED_PAD src0_sel:WORD_1 src1_sel:DWORD
	v_add_f16_e32 v14, v14, v7
	v_add_f16_e32 v22, v22, v13
	v_lshrrev_b32_e32 v41, 16, v29
	v_lshrrev_b32_e32 v46, 16, v30
	v_fmac_f16_e32 v23, v9, v28
	v_fma_f16 v9, v9, v40, -v25
	v_add_f16_e32 v14, v14, v18
	v_add_f16_e32 v22, v22, v15
	v_mul_f16_sdwa v25, v11, v30 dst_sel:DWORD dst_unused:UNUSED_PAD src0_sel:WORD_1 src1_sel:DWORD
	v_mul_f16_sdwa v26, v10, v41 dst_sel:DWORD dst_unused:UNUSED_PAD src0_sel:WORD_1 src1_sel:DWORD
	;; [unrolled: 1-line block ×3, first 2 shown]
	v_add_f16_e32 v14, v14, v24
	v_add_f16_e32 v22, v22, v8
	v_mul_f16_sdwa v28, v11, v46 dst_sel:DWORD dst_unused:UNUSED_PAD src0_sel:WORD_1 src1_sel:DWORD
	v_fma_f16 v25, v11, v46, -v25
	v_fmac_f16_e32 v26, v10, v29
	v_fma_f16 v10, v10, v41, -v27
	v_add_f16_e32 v14, v14, v23
	v_add_f16_e32 v22, v22, v9
	v_fmac_f16_e32 v28, v11, v30
	v_sub_f16_e32 v11, v1, v25
	v_add_f16_e32 v30, v1, v25
	v_add_f16_e32 v14, v14, v26
	;; [unrolled: 1-line block ×4, first 2 shown]
	v_mul_f16_e32 v29, 0xb770, v11
	v_sub_f16_e32 v55, v32, v10
	v_add_f16_e32 v1, v14, v28
	v_add_f16_sdwa v14, v22, v25 dst_sel:WORD_1 dst_unused:UNUSED_PAD src0_sel:DWORD src1_sel:DWORD
	v_sub_f16_e32 v25, v42, v28
	v_fmamk_f16 v22, v27, 0x3b15, v29
	v_mul_f16_e32 v28, 0x3b15, v30
	v_mul_f16_e32 v34, 0x388b, v30
	;; [unrolled: 1-line block ×6, first 2 shown]
	v_add_f16_e32 v57, v44, v26
	v_mul_f16_e32 v58, 0xba95, v55
	v_or_b32_sdwa v1, v14, v1 dst_sel:DWORD dst_unused:UNUSED_PAD src0_sel:DWORD src1_sel:WORD_0
	v_add_f16_e32 v14, v22, v31
	v_mul_f16_e32 v22, 0xba95, v11
	v_fmamk_f16 v33, v25, 0x3770, v28
	v_fmac_f16_e32 v28, 0xb770, v25
	v_fmamk_f16 v36, v25, 0x3a95, v34
	v_mul_f16_e32 v37, 0xbbf1, v11
	v_fmac_f16_e32 v34, 0xba95, v25
	v_mul_f16_e32 v40, 0xbb7b, v11
	v_fmamk_f16 v41, v25, 0x3bf1, v38
	v_fmac_f16_e32 v38, 0xbbf1, v25
	v_mul_f16_e32 v49, 0xb94e, v11
	v_fmamk_f16 v50, v25, 0x3b7b, v46
	v_fmac_f16_e32 v46, 0xbb7b, v25
	v_fmamk_f16 v53, v25, 0x394e, v51
	v_mul_f16_e32 v11, 0xb3a8, v11
	v_fmac_f16_e32 v51, 0xb94e, v25
	v_fmamk_f16 v56, v25, 0x33a8, v30
	v_add_f16_e32 v10, v32, v10
	v_fmac_f16_e32 v30, 0xb3a8, v25
	v_fmamk_f16 v25, v57, 0x388b, v58
	v_fma_f16 v29, v27, 0x3b15, -v29
	v_fmamk_f16 v35, v27, 0x388b, v22
	v_fma_f16 v22, v27, 0x388b, -v22
	;; [unrolled: 2-line block ×6, first 2 shown]
	v_sub_f16_e32 v26, v44, v26
	v_mul_f16_e32 v27, 0x388b, v10
	v_add_f16_e32 v14, v25, v14
	v_mul_f16_e32 v25, 0xbb7b, v55
	v_add_f16_sdwa v33, v33, v31 dst_sel:DWORD dst_unused:UNUSED_PAD src0_sel:DWORD src1_sel:WORD_1
	v_add_f16_e32 v29, v29, v31
	v_add_f16_sdwa v28, v28, v31 dst_sel:DWORD dst_unused:UNUSED_PAD src0_sel:DWORD src1_sel:WORD_1
	v_add_f16_e32 v35, v35, v31
	;; [unrolled: 2-line block ×11, first 2 shown]
	v_add_f16_sdwa v30, v30, v31 dst_sel:DWORD dst_unused:UNUSED_PAD src0_sel:DWORD src1_sel:WORD_1
	v_fmamk_f16 v31, v26, 0x3a95, v27
	v_fma_f16 v32, v57, 0x388b, -v58
	v_fmac_f16_e32 v27, 0xba95, v26
	v_mul_f16_e32 v44, 0xb5ac, v10
	v_fmamk_f16 v58, v57, 0xb5ac, v25
	v_add_f16_e32 v31, v31, v33
	v_add_f16_e32 v29, v32, v29
	;; [unrolled: 1-line block ×3, first 2 shown]
	v_fmamk_f16 v28, v26, 0x3b7b, v44
	v_add_f16_e32 v32, v58, v35
	v_mul_f16_e32 v33, 0xb3a8, v55
	v_fma_f16 v25, v57, 0xb5ac, -v25
	v_fmac_f16_e32 v44, 0xbb7b, v26
	v_mul_f16_e32 v35, 0xbbc4, v10
	v_add_f16_e32 v28, v28, v36
	v_fmamk_f16 v36, v57, 0xbbc4, v33
	v_add_f16_e32 v22, v25, v22
	v_add_f16_e32 v25, v44, v34
	v_mul_f16_e32 v34, 0x394e, v55
	v_fmamk_f16 v44, v26, 0x33a8, v35
	v_add_f16_e32 v36, v36, v39
	v_fma_f16 v33, v57, 0xbbc4, -v33
	v_fmac_f16_e32 v35, 0xb3a8, v26
	v_fmamk_f16 v39, v57, 0xb9fd, v34
	v_add_f16_e32 v41, v44, v41
	v_mul_f16_e32 v44, 0xb9fd, v10
	v_add_f16_e32 v33, v33, v37
	v_add_f16_e32 v35, v35, v38
	v_add_f16_e32 v37, v39, v42
	v_mul_f16_e32 v38, 0x3bf1, v55
	v_fmamk_f16 v39, v26, 0xb94e, v44
	v_fma_f16 v34, v57, 0xb9fd, -v34
	v_mul_f16_e32 v42, 0x2fb7, v10
	v_fmac_f16_e32 v44, 0x394e, v26
	v_fmamk_f16 v58, v57, 0x2fb7, v38
	v_add_f16_e32 v39, v39, v50
	v_mul_f16_e32 v50, 0x3770, v55
	v_fma_f16 v38, v57, 0x2fb7, -v38
	v_add_f16_e32 v34, v34, v40
	v_fmamk_f16 v40, v26, 0xbbf1, v42
	v_add_f16_e32 v44, v44, v46
	v_add_f16_e32 v46, v58, v52
	v_mul_f16_e32 v10, 0x3b15, v10
	v_fmac_f16_e32 v42, 0x3bf1, v26
	v_fmamk_f16 v52, v57, 0x3b15, v50
	v_add_f16_e32 v38, v38, v49
	v_sub_f16_e32 v49, v21, v9
	v_add_f16_e32 v40, v40, v53
	v_fmamk_f16 v53, v26, 0xb770, v10
	v_add_f16_e32 v42, v42, v51
	v_add_f16_e32 v51, v52, v54
	;; [unrolled: 1-line block ×3, first 2 shown]
	v_mul_f16_e32 v54, 0xbbf1, v49
	v_add_f16_e32 v9, v21, v9
	v_fma_f16 v21, v57, 0x3b15, -v50
	v_fmac_f16_e32 v10, 0x3770, v26
	v_sub_f16_e32 v23, v43, v23
	v_fmamk_f16 v26, v52, 0x2fb7, v54
	v_mul_f16_e32 v43, 0x2fb7, v9
	v_add_f16_e32 v11, v21, v11
	v_add_f16_e32 v10, v10, v30
	v_mul_f16_e32 v21, 0xb3a8, v49
	v_fma_f16 v30, v52, 0x2fb7, -v54
	v_mul_f16_e32 v50, 0xbbc4, v9
	v_add_f16_e32 v14, v26, v14
	v_fmamk_f16 v26, v23, 0x3bf1, v43
	v_fmamk_f16 v54, v52, 0xbbc4, v21
	v_add_f16_e32 v29, v30, v29
	v_fmamk_f16 v30, v23, 0x33a8, v50
	v_fmac_f16_e32 v43, 0xbbf1, v23
	v_add_f16_e32 v26, v26, v31
	v_add_f16_e32 v31, v54, v32
	v_mul_f16_e32 v32, 0x3b7b, v49
	v_fma_f16 v21, v52, 0xbbc4, -v21
	v_fmac_f16_e32 v50, 0xb3a8, v23
	v_add_f16_e32 v28, v30, v28
	v_mul_f16_e32 v30, 0xb5ac, v9
	v_add_f16_e32 v27, v43, v27
	v_fmamk_f16 v43, v52, 0xb5ac, v32
	v_add_f16_e32 v21, v21, v22
	v_add_f16_e32 v22, v50, v25
	v_mul_f16_e32 v25, 0x3770, v49
	v_fmamk_f16 v50, v23, 0xbb7b, v30
	v_fmac_f16_e32 v30, 0x3b7b, v23
	v_add_f16_e32 v36, v43, v36
	v_fma_f16 v32, v52, 0xb5ac, -v32
	v_fmamk_f16 v43, v52, 0x3b15, v25
	v_add_f16_e32 v41, v50, v41
	v_add_f16_e32 v30, v30, v35
	v_mul_f16_e32 v35, 0xba95, v49
	v_mul_f16_e32 v50, 0x3b15, v9
	v_add_f16_e32 v32, v32, v33
	v_add_f16_e32 v33, v43, v37
	v_fma_f16 v25, v52, 0x3b15, -v25
	v_mul_f16_e32 v43, 0x388b, v9
	v_fmamk_f16 v54, v52, 0x388b, v35
	v_fma_f16 v35, v52, 0x388b, -v35
	v_fmamk_f16 v37, v23, 0xb770, v50
	v_fmac_f16_e32 v50, 0x3770, v23
	v_add_f16_e32 v25, v25, v34
	v_fmamk_f16 v34, v23, 0x3a95, v43
	v_fmac_f16_e32 v43, 0xba95, v23
	v_add_f16_e32 v35, v35, v38
	v_sub_f16_e32 v38, v19, v8
	v_add_f16_e32 v37, v37, v39
	v_add_f16_e32 v39, v50, v44
	v_add_f16_e32 v44, v54, v46
	v_mul_f16_e32 v46, 0xb94e, v49
	v_mul_f16_e32 v9, 0xb9fd, v9
	v_add_f16_e32 v42, v43, v42
	v_add_f16_e32 v43, v45, v24
	v_mul_f16_e32 v50, 0xbb7b, v38
	v_add_f16_e32 v8, v19, v8
	v_fmamk_f16 v49, v23, 0x394e, v9
	v_fma_f16 v19, v52, 0xb9fd, -v46
	v_fmac_f16_e32 v9, 0xb94e, v23
	v_fmamk_f16 v23, v43, 0xb5ac, v50
	v_sub_f16_e32 v24, v45, v24
	v_mul_f16_e32 v45, 0xb5ac, v8
	v_add_f16_e32 v34, v34, v40
	v_fmamk_f16 v40, v52, 0xb9fd, v46
	v_add_f16_e32 v11, v19, v11
	v_add_f16_e32 v9, v9, v10
	;; [unrolled: 1-line block ×3, first 2 shown]
	v_mul_f16_e32 v14, 0x394e, v38
	v_fmamk_f16 v19, v24, 0x3b7b, v45
	v_fmac_f16_e32 v45, 0xbb7b, v24
	v_mul_f16_e32 v46, 0xb9fd, v8
	v_fma_f16 v23, v43, 0xb5ac, -v50
	v_fmamk_f16 v50, v43, 0xb9fd, v14
	v_add_f16_e32 v19, v19, v26
	v_add_f16_e32 v26, v45, v27
	v_fmamk_f16 v27, v24, 0xb94e, v46
	v_add_f16_e32 v23, v23, v29
	v_add_f16_e32 v29, v50, v31
	v_mul_f16_e32 v31, 0x3770, v38
	v_fma_f16 v14, v43, 0xb9fd, -v14
	v_fmac_f16_e32 v46, 0x394e, v24
	v_add_f16_e32 v27, v27, v28
	v_mul_f16_e32 v28, 0x3b15, v8
	v_fmamk_f16 v45, v43, 0x3b15, v31
	v_add_f16_e32 v14, v14, v21
	v_add_f16_e32 v21, v46, v22
	v_mul_f16_e32 v22, 0xbbf1, v38
	v_fmamk_f16 v46, v24, 0xb770, v28
	v_add_f16_e32 v36, v45, v36
	v_fma_f16 v31, v43, 0x3b15, -v31
	v_fmac_f16_e32 v28, 0x3770, v24
	v_fmamk_f16 v45, v43, 0x2fb7, v22
	v_add_f16_e32 v41, v46, v41
	v_mul_f16_e32 v46, 0x2fb7, v8
	v_add_f16_e32 v31, v31, v32
	v_add_f16_e32 v28, v28, v30
	;; [unrolled: 1-line block ×3, first 2 shown]
	v_mul_f16_e32 v32, 0x33a8, v38
	v_fmamk_f16 v33, v24, 0x3bf1, v46
	v_mul_f16_e32 v45, 0xbbc4, v8
	v_add_f16_e32 v53, v53, v56
	v_fma_f16 v22, v43, 0x2fb7, -v22
	v_fmac_f16_e32 v46, 0xbbf1, v24
	v_fmamk_f16 v50, v43, 0xbbc4, v32
	v_add_f16_e32 v33, v33, v37
	v_fmamk_f16 v37, v24, 0xb3a8, v45
	v_mul_f16_e32 v38, 0x3a95, v38
	v_mul_f16_e32 v8, 0x388b, v8
	v_fma_f16 v32, v43, 0xbbc4, -v32
	v_add_f16_e32 v40, v40, v51
	v_add_f16_e32 v49, v49, v53
	v_add_f16_e32 v22, v22, v25
	v_add_f16_e32 v25, v46, v39
	v_add_f16_e32 v39, v50, v44
	v_add_f16_e32 v34, v37, v34
	v_fmac_f16_e32 v45, 0x33a8, v24
	v_fmamk_f16 v37, v43, 0x388b, v38
	v_fmamk_f16 v44, v24, 0xba95, v8
	v_add_f16_e32 v32, v32, v35
	v_sub_f16_e32 v35, v17, v15
	v_add_f16_e32 v15, v17, v15
	v_add_f16_e32 v42, v45, v42
	;; [unrolled: 1-line block ×5, first 2 shown]
	v_mul_f16_e32 v45, 0xb94e, v35
	v_fma_f16 v17, v43, 0x388b, -v38
	v_fmac_f16_e32 v8, 0x3a95, v24
	v_sub_f16_e32 v16, v16, v18
	v_mul_f16_e32 v24, 0xb9fd, v15
	v_fmamk_f16 v18, v44, 0xb9fd, v45
	v_add_f16_e32 v11, v17, v11
	v_add_f16_e32 v8, v8, v9
	v_mul_f16_e32 v9, 0x3bf1, v35
	v_fmamk_f16 v17, v16, 0x394e, v24
	v_fmac_f16_e32 v24, 0xb94e, v16
	v_mul_f16_e32 v43, 0x2fb7, v15
	v_add_f16_e32 v10, v18, v10
	v_fma_f16 v18, v44, 0xb9fd, -v45
	v_fmamk_f16 v38, v44, 0x2fb7, v9
	v_add_f16_e32 v17, v17, v19
	v_add_f16_e32 v19, v24, v26
	v_fmamk_f16 v24, v16, 0xbbf1, v43
	v_mul_f16_e32 v26, 0xba95, v35
	v_add_f16_e32 v18, v18, v23
	v_add_f16_e32 v23, v38, v29
	v_fma_f16 v9, v44, 0x2fb7, -v9
	v_fmac_f16_e32 v43, 0x3bf1, v16
	v_mul_f16_e32 v29, 0x388b, v15
	v_add_f16_e32 v24, v24, v27
	v_fmamk_f16 v27, v44, 0x388b, v26
	v_mul_f16_e32 v38, 0x33a8, v35
	v_add_f16_e32 v9, v9, v14
	v_add_f16_e32 v14, v43, v21
	v_fmamk_f16 v21, v16, 0x3a95, v29
	v_add_f16_e32 v27, v27, v36
	v_fmac_f16_e32 v29, 0xba95, v16
	v_fmamk_f16 v36, v44, 0xbbc4, v38
	v_fma_f16 v26, v44, 0x388b, -v26
	v_add_f16_e32 v21, v21, v41
	v_mul_f16_e32 v41, 0xbbc4, v15
	v_add_f16_e32 v28, v29, v28
	v_mul_f16_e32 v29, 0x3770, v35
	v_add_f16_e32 v30, v36, v30
	v_fma_f16 v36, v44, 0xbbc4, -v38
	v_mul_f16_e32 v43, 0x3b15, v15
	v_add_f16_e32 v26, v26, v31
	v_fmamk_f16 v31, v16, 0xb3a8, v41
	v_fmamk_f16 v38, v44, 0x3b15, v29
	v_add_f16_e32 v22, v36, v22
	v_fmamk_f16 v36, v16, 0xb770, v43
	v_mul_f16_e32 v35, 0xbb7b, v35
	v_mul_f16_e32 v15, 0xb5ac, v15
	v_add_f16_e32 v31, v31, v33
	v_add_f16_e32 v33, v38, v39
	v_add_f16_e32 v34, v36, v34
	v_fmamk_f16 v36, v44, 0xb5ac, v35
	v_fmamk_f16 v38, v16, 0x3b7b, v15
	v_sub_f16_e32 v39, v12, v13
	v_add_f16_e32 v12, v12, v13
	v_fma_f16 v35, v44, 0xb5ac, -v35
	v_add_f16_e32 v36, v36, v37
	v_add_f16_e32 v37, v38, v40
	;; [unrolled: 1-line block ×3, first 2 shown]
	v_mul_f16_e32 v13, 0xb3a8, v39
	v_fmac_f16_e32 v15, 0xbb7b, v16
	v_sub_f16_e32 v6, v6, v7
	v_mul_f16_e32 v7, 0xbbc4, v12
	v_fmac_f16_e32 v41, 0x33a8, v16
	v_fmac_f16_e32 v43, 0x3770, v16
	v_fmamk_f16 v16, v38, 0xbbc4, v13
	v_add_f16_e32 v11, v35, v11
	v_add_f16_e32 v8, v15, v8
	v_mul_f16_e32 v15, 0x3770, v39
	v_fmamk_f16 v35, v6, 0x33a8, v7
	v_fma_f16 v13, v38, 0xbbc4, -v13
	v_add_f16_e32 v10, v16, v10
	v_fmac_f16_e32 v7, 0xb3a8, v6
	v_fmamk_f16 v16, v38, 0x3b15, v15
	v_add_f16_e32 v17, v35, v17
	v_mul_f16_e32 v35, 0x3b15, v12
	v_add_f16_e32 v13, v13, v18
	v_mul_f16_e32 v18, 0xb94e, v39
	v_add_f16_e32 v7, v7, v19
	v_add_f16_e32 v16, v16, v23
	v_fmamk_f16 v19, v6, 0xb770, v35
	v_fma_f16 v15, v38, 0x3b15, -v15
	v_mul_f16_e32 v23, 0xb9fd, v12
	v_fmamk_f16 v40, v38, 0xb9fd, v18
	v_fma_f16 v18, v38, 0xb9fd, -v18
	v_add_f16_e32 v19, v19, v24
	v_add_f16_e32 v9, v15, v9
	v_fmamk_f16 v15, v6, 0x394e, v23
	v_add_f16_e32 v24, v40, v27
	v_mul_f16_e32 v27, 0x3a95, v39
	v_fmac_f16_e32 v23, 0xb94e, v6
	v_fmac_f16_e32 v35, 0x3770, v6
	v_add_f16_e32 v15, v15, v21
	v_mul_f16_e32 v21, 0x388b, v12
	v_add_f16_e32 v18, v18, v26
	v_fmamk_f16 v26, v38, 0x388b, v27
	v_add_f16_e32 v23, v23, v28
	v_mul_f16_e32 v28, 0xbb7b, v39
	v_fma_f16 v27, v38, 0x388b, -v27
	v_add_f16_e32 v25, v41, v25
	v_add_f16_e32 v14, v35, v14
	v_fmamk_f16 v35, v6, 0xba95, v21
	v_add_f16_e32 v26, v26, v30
	v_fmac_f16_e32 v21, 0x3a95, v6
	v_fmamk_f16 v30, v38, 0xb5ac, v28
	v_add_f16_e32 v22, v27, v22
	v_mul_f16_e32 v27, 0xb5ac, v12
	v_fma_f16 v29, v44, 0x3b15, -v29
	v_add_f16_e32 v21, v21, v25
	v_add_f16_e32 v25, v30, v33
	v_mul_f16_e32 v30, 0x3bf1, v39
	v_mul_f16_e32 v12, 0x2fb7, v12
	v_fmamk_f16 v33, v6, 0x3b7b, v27
	v_add_f16_e32 v29, v29, v32
	v_add_f16_e32 v32, v43, v42
	;; [unrolled: 1-line block ×3, first 2 shown]
	v_fma_f16 v28, v38, 0xb5ac, -v28
	v_fmac_f16_e32 v27, 0xbb7b, v6
	v_fmamk_f16 v35, v38, 0x2fb7, v30
	v_fmamk_f16 v39, v6, 0xbbf1, v12
	v_fma_f16 v30, v38, 0x2fb7, -v30
	v_fmac_f16_e32 v12, 0x3bf1, v6
	v_add_f16_e32 v33, v33, v34
	v_add_f16_e32 v28, v28, v29
	v_add_f16_e32 v27, v27, v32
	v_add_f16_e32 v29, v35, v36
	v_add_f16_e32 v32, v39, v37
	v_pack_b32_f16 v6, v10, v17
	v_add_f16_e32 v11, v30, v11
	v_add_f16_e32 v8, v12, v8
	v_pack_b32_f16 v10, v16, v19
	v_pack_b32_f16 v15, v24, v15
	v_add_nc_u32_e32 v16, 0x200, v47
	ds_write_b32 v47, v1
	ds_write_b32 v47, v6 offset:476
	ds_write2_b32 v16, v10, v15 offset0:110 offset1:229
	v_pack_b32_f16 v10, v26, v31
	v_pack_b32_f16 v12, v25, v33
	v_add_nc_u32_e32 v1, 0x600, v47
	v_add_nc_u32_e32 v6, 0xe00, v47
	v_pack_b32_f16 v15, v29, v32
	v_pack_b32_f16 v8, v11, v8
	v_add_nc_u32_e32 v11, 0xa00, v47
	v_pack_b32_f16 v16, v28, v27
	v_pack_b32_f16 v17, v22, v21
	;; [unrolled: 1-line block ×4, first 2 shown]
	v_add_nc_u32_e32 v14, 0x1200, v47
	v_pack_b32_f16 v7, v13, v7
	ds_write2_b32 v1, v10, v12 offset0:92 offset1:211
	ds_write2_b32 v11, v15, v8 offset0:74 offset1:193
	ds_write2_b32 v6, v16, v17 offset0:56 offset1:175
	ds_write2_b32 v14, v18, v9 offset0:38 offset1:157
	ds_write_b32 v47, v7 offset:5712
	s_waitcnt lgkmcnt(0)
	s_barrier
	buffer_gl0_inv
	s_and_b32 exec_lo, exec_lo, vcc_lo
	s_cbranch_execz .LBB0_23
; %bb.22:
	global_load_dword v7, v47, s[8:9]
	ds_read_b32 v8, v47
	s_mov_b32 s12, 0x152e8015
	s_mov_b32 s13, 0x3f452e80
	v_mad_u64_u32 v[13:14], null, s4, v48, 0
	s_mul_hi_u32 s3, s4, 0x16c
	s_mulk_i32 s4, 0x16c
	s_waitcnt lgkmcnt(0)
	v_lshrrev_b32_e32 v9, 16, v8
	s_waitcnt vmcnt(0)
	v_mul_f16_sdwa v10, v9, v7 dst_sel:DWORD dst_unused:UNUSED_PAD src0_sel:DWORD src1_sel:WORD_1
	v_mul_f16_sdwa v11, v8, v7 dst_sel:DWORD dst_unused:UNUSED_PAD src0_sel:DWORD src1_sel:WORD_1
	v_fmac_f16_e32 v10, v8, v7
	v_fma_f16 v7, v7, v9, -v11
	v_mad_u64_u32 v[11:12], null, s6, v20, 0
	v_cvt_f32_f16_e32 v8, v10
	v_cvt_f32_f16_e32 v9, v7
	v_cvt_f64_f32_e32 v[7:8], v8
	v_cvt_f64_f32_e32 v[9:10], v9
	v_mul_f64 v[7:8], v[7:8], s[12:13]
	v_mul_f64 v[9:10], v[9:10], s[12:13]
	v_and_or_b32 v7, 0x1ff, v8, v7
	v_and_or_b32 v9, 0x1ff, v10, v9
	v_lshrrev_b32_e32 v15, 8, v8
	v_bfe_u32 v17, v8, 20, 11
	v_bfe_u32 v18, v10, 20, 11
	v_cmp_ne_u32_e32 vcc_lo, 0, v7
	v_lshrrev_b32_e32 v16, 8, v10
	v_mov_b32_e32 v7, v14
	v_sub_nc_u32_e32 v21, 0x3f1, v17
	v_sub_nc_u32_e32 v22, 0x3f1, v18
	v_cndmask_b32_e64 v19, 0, 1, vcc_lo
	v_cmp_ne_u32_e32 vcc_lo, 0, v9
	v_add_nc_u32_e32 v17, 0xfffffc10, v17
	v_add_nc_u32_e32 v18, 0xfffffc10, v18
	v_lshrrev_b32_e32 v10, 16, v10
	v_and_or_b32 v19, 0xffe, v15, v19
	v_cndmask_b32_e64 v9, 0, 1, vcc_lo
	v_mad_u64_u32 v[14:15], null, s7, v20, v[12:13]
	v_med3_i32 v20, v21, 0, 13
	v_med3_i32 v21, v22, 0, 13
	v_and_or_b32 v9, 0xffe, v16, v9
	v_or_b32_e32 v22, 0x1000, v19
	v_mad_u64_u32 v[15:16], null, s5, v48, v[7:8]
	v_mov_b32_e32 v12, v14
	v_or_b32_e32 v23, 0x1000, v9
	v_lshrrev_b32_e32 v7, v20, v22
	v_lshlrev_b64 v[11:12], 2, v[11:12]
	v_lshrrev_b32_e32 v16, v21, v23
	v_lshlrev_b32_e32 v20, v20, v7
	v_mov_b32_e32 v14, v15
	v_lshlrev_b32_e32 v15, v21, v16
	v_cmp_ne_u32_e32 vcc_lo, v20, v22
	v_lshl_or_b32 v21, v17, 12, v19
	v_cndmask_b32_e64 v20, 0, 1, vcc_lo
	v_cmp_ne_u32_e32 vcc_lo, v15, v23
	v_or_b32_e32 v7, v7, v20
	v_cndmask_b32_e64 v15, 0, 1, vcc_lo
	v_cmp_gt_i32_e32 vcc_lo, 1, v17
	v_lshl_or_b32 v20, v18, 12, v9
	v_or_b32_e32 v15, v16, v15
	v_cndmask_b32_e32 v7, v21, v7, vcc_lo
	v_cmp_gt_i32_e32 vcc_lo, 1, v18
	v_lshrrev_b32_e32 v16, 16, v8
	v_cndmask_b32_e32 v8, v20, v15, vcc_lo
	v_cmp_ne_u32_e32 vcc_lo, 0, v19
	v_and_b32_e32 v19, 7, v7
	v_lshrrev_b32_e32 v7, 2, v7
	v_and_b32_e32 v20, 7, v8
	v_cndmask_b32_e64 v15, 0, 1, vcc_lo
	v_cmp_ne_u32_e32 vcc_lo, 0, v9
	v_cmp_eq_u32_e64 s0, 3, v19
	v_lshrrev_b32_e32 v8, 2, v8
	v_cmp_lt_i32_e64 s1, 5, v20
	v_cmp_eq_u32_e64 s2, 3, v20
	v_cndmask_b32_e64 v9, 0, 1, vcc_lo
	v_cmp_lt_i32_e32 vcc_lo, 5, v19
	v_lshl_or_b32 v15, v15, 9, 0x7c00
	v_lshl_or_b32 v9, v9, 9, 0x7c00
	s_or_b32 vcc_lo, s0, vcc_lo
	v_add_co_ci_u32_e32 v7, vcc_lo, 0, v7, vcc_lo
	s_or_b32 vcc_lo, s2, s1
	v_add_co_ci_u32_e32 v8, vcc_lo, 0, v8, vcc_lo
	v_cmp_gt_i32_e32 vcc_lo, 31, v17
	v_cndmask_b32_e32 v7, 0x7c00, v7, vcc_lo
	v_cmp_gt_i32_e32 vcc_lo, 31, v18
	v_cndmask_b32_e32 v19, 0x7c00, v8, vcc_lo
	v_cmp_eq_u32_e32 vcc_lo, 0x40f, v17
	v_cndmask_b32_e32 v15, v7, v15, vcc_lo
	v_cmp_eq_u32_e32 vcc_lo, 0x40f, v18
	v_lshlrev_b64 v[7:8], 2, v[13:14]
	v_and_or_b32 v13, 0x8000, v16, v15
	v_cndmask_b32_e32 v9, v19, v9, vcc_lo
	v_add_co_u32 v11, vcc_lo, s10, v11
	v_add_co_ci_u32_e32 v12, vcc_lo, s11, v12, vcc_lo
	v_and_or_b32 v9, 0x8000, v10, v9
	v_and_b32_e32 v10, 0xffff, v13
	v_add_co_u32 v7, vcc_lo, v11, v7
	v_add_co_ci_u32_e32 v8, vcc_lo, v12, v8, vcc_lo
	v_lshl_or_b32 v9, v9, 16, v10
	global_store_dword v[7:8], v9, off
	global_load_dword v11, v47, s[8:9] offset:364
	ds_read2_b32 v[9:10], v47 offset0:91 offset1:182
	s_waitcnt lgkmcnt(0)
	v_lshrrev_b32_e32 v12, 16, v9
	s_waitcnt vmcnt(0)
	v_mul_f16_sdwa v13, v12, v11 dst_sel:DWORD dst_unused:UNUSED_PAD src0_sel:DWORD src1_sel:WORD_1
	v_mul_f16_sdwa v14, v9, v11 dst_sel:DWORD dst_unused:UNUSED_PAD src0_sel:DWORD src1_sel:WORD_1
	v_fmac_f16_e32 v13, v9, v11
	v_fma_f16 v9, v11, v12, -v14
	v_cvt_f32_f16_e32 v11, v13
	v_cvt_f32_f16_e32 v9, v9
	v_cvt_f64_f32_e32 v[11:12], v11
	v_cvt_f64_f32_e32 v[13:14], v9
	v_mul_f64 v[11:12], v[11:12], s[12:13]
	v_mul_f64 v[13:14], v[13:14], s[12:13]
	v_and_or_b32 v9, 0x1ff, v12, v11
	v_and_or_b32 v13, 0x1ff, v14, v13
	v_lshrrev_b32_e32 v11, 8, v12
	v_bfe_u32 v15, v12, 20, 11
	v_lshrrev_b32_e32 v16, 8, v14
	v_cmp_ne_u32_e32 vcc_lo, 0, v9
	v_bfe_u32 v17, v14, 20, 11
	v_lshrrev_b32_e32 v12, 16, v12
	v_sub_nc_u32_e32 v18, 0x3f1, v15
	v_add_nc_u32_e32 v15, 0xfffffc10, v15
	v_cndmask_b32_e64 v9, 0, 1, vcc_lo
	v_cmp_ne_u32_e32 vcc_lo, 0, v13
	v_lshrrev_b32_e32 v14, 16, v14
	v_and_or_b32 v9, 0xffe, v11, v9
	v_cndmask_b32_e64 v13, 0, 1, vcc_lo
	v_sub_nc_u32_e32 v11, 0x3f1, v17
	v_add_nc_u32_e32 v17, 0xfffffc10, v17
	v_and_or_b32 v13, 0xffe, v16, v13
	v_med3_i32 v16, v18, 0, 13
	v_or_b32_e32 v18, 0x1000, v9
	v_med3_i32 v11, v11, 0, 13
	v_or_b32_e32 v19, 0x1000, v13
	v_lshrrev_b32_e32 v20, v16, v18
	v_lshrrev_b32_e32 v21, v11, v19
	v_lshlrev_b32_e32 v16, v16, v20
	v_lshlrev_b32_e32 v11, v11, v21
	v_cmp_ne_u32_e32 vcc_lo, v16, v18
	v_lshl_or_b32 v18, v15, 12, v9
	v_cndmask_b32_e64 v16, 0, 1, vcc_lo
	v_cmp_ne_u32_e32 vcc_lo, v11, v19
	v_lshl_or_b32 v19, v17, 12, v13
	v_or_b32_e32 v16, v20, v16
	v_cndmask_b32_e64 v11, 0, 1, vcc_lo
	v_cmp_gt_i32_e32 vcc_lo, 1, v15
	v_or_b32_e32 v11, v21, v11
	v_cndmask_b32_e32 v16, v18, v16, vcc_lo
	v_cmp_gt_i32_e32 vcc_lo, 1, v17
	v_and_b32_e32 v18, 7, v16
	v_cndmask_b32_e32 v11, v19, v11, vcc_lo
	v_cmp_ne_u32_e32 vcc_lo, 0, v9
	v_lshrrev_b32_e32 v16, 2, v16
	v_cmp_eq_u32_e64 s0, 3, v18
	v_and_b32_e32 v19, 7, v11
	v_cndmask_b32_e64 v9, 0, 1, vcc_lo
	v_cmp_ne_u32_e32 vcc_lo, 0, v13
	v_lshrrev_b32_e32 v11, 2, v11
	v_cmp_lt_i32_e64 s1, 5, v19
	v_cmp_eq_u32_e64 s2, 3, v19
	v_cndmask_b32_e64 v13, 0, 1, vcc_lo
	v_cmp_lt_i32_e32 vcc_lo, 5, v18
	v_lshl_or_b32 v9, v9, 9, 0x7c00
	v_lshl_or_b32 v13, v13, 9, 0x7c00
	s_or_b32 vcc_lo, s0, vcc_lo
	s_mul_i32 s0, s5, 0x16c
	v_add_co_ci_u32_e32 v16, vcc_lo, 0, v16, vcc_lo
	s_or_b32 vcc_lo, s2, s1
	s_add_i32 s3, s3, s0
	v_add_co_ci_u32_e32 v11, vcc_lo, 0, v11, vcc_lo
	v_cmp_gt_i32_e32 vcc_lo, 31, v15
	v_cndmask_b32_e32 v16, 0x7c00, v16, vcc_lo
	v_cmp_gt_i32_e32 vcc_lo, 31, v17
	v_cndmask_b32_e32 v11, 0x7c00, v11, vcc_lo
	v_cmp_eq_u32_e32 vcc_lo, 0x40f, v15
	v_cndmask_b32_e32 v9, v16, v9, vcc_lo
	v_cmp_eq_u32_e32 vcc_lo, 0x40f, v17
	v_and_or_b32 v9, 0x8000, v12, v9
	v_cndmask_b32_e32 v11, v11, v13, vcc_lo
	v_add_co_u32 v7, vcc_lo, v7, s4
	v_add_co_ci_u32_e32 v8, vcc_lo, s3, v8, vcc_lo
	v_and_or_b32 v11, 0x8000, v14, v11
	v_and_b32_e32 v9, 0xffff, v9
	v_lshl_or_b32 v9, v11, 16, v9
	v_lshrrev_b32_e32 v11, 16, v10
	global_store_dword v[7:8], v9, off
	global_load_dword v9, v47, s[8:9] offset:728
	s_waitcnt vmcnt(0)
	v_mul_f16_sdwa v12, v11, v9 dst_sel:DWORD dst_unused:UNUSED_PAD src0_sel:DWORD src1_sel:WORD_1
	v_mul_f16_sdwa v13, v10, v9 dst_sel:DWORD dst_unused:UNUSED_PAD src0_sel:DWORD src1_sel:WORD_1
	v_fmac_f16_e32 v12, v10, v9
	v_fma_f16 v9, v9, v11, -v13
	v_cvt_f32_f16_e32 v10, v12
	v_cvt_f32_f16_e32 v11, v9
	v_cvt_f64_f32_e32 v[9:10], v10
	v_cvt_f64_f32_e32 v[11:12], v11
	v_mul_f64 v[9:10], v[9:10], s[12:13]
	v_mul_f64 v[11:12], v[11:12], s[12:13]
	v_and_or_b32 v9, 0x1ff, v10, v9
	v_and_or_b32 v11, 0x1ff, v12, v11
	v_lshrrev_b32_e32 v13, 8, v10
	v_bfe_u32 v14, v10, 20, 11
	v_lshrrev_b32_e32 v15, 8, v12
	v_cmp_ne_u32_e32 vcc_lo, 0, v9
	v_bfe_u32 v16, v12, 20, 11
	v_lshrrev_b32_e32 v10, 16, v10
	v_sub_nc_u32_e32 v17, 0x3f1, v14
	v_add_nc_u32_e32 v14, 0xfffffc10, v14
	v_cndmask_b32_e64 v9, 0, 1, vcc_lo
	v_cmp_ne_u32_e32 vcc_lo, 0, v11
	v_lshrrev_b32_e32 v12, 16, v12
	v_and_or_b32 v9, 0xffe, v13, v9
	v_cndmask_b32_e64 v11, 0, 1, vcc_lo
	v_sub_nc_u32_e32 v13, 0x3f1, v16
	v_add_nc_u32_e32 v16, 0xfffffc10, v16
	v_and_or_b32 v11, 0xffe, v15, v11
	v_med3_i32 v15, v17, 0, 13
	v_or_b32_e32 v17, 0x1000, v9
	v_med3_i32 v13, v13, 0, 13
	v_or_b32_e32 v18, 0x1000, v11
	v_lshrrev_b32_e32 v19, v15, v17
	v_lshrrev_b32_e32 v20, v13, v18
	v_lshlrev_b32_e32 v15, v15, v19
	v_lshlrev_b32_e32 v13, v13, v20
	v_cmp_ne_u32_e32 vcc_lo, v15, v17
	v_lshl_or_b32 v17, v14, 12, v9
	v_cndmask_b32_e64 v15, 0, 1, vcc_lo
	v_cmp_ne_u32_e32 vcc_lo, v13, v18
	v_lshl_or_b32 v18, v16, 12, v11
	v_or_b32_e32 v15, v19, v15
	v_cndmask_b32_e64 v13, 0, 1, vcc_lo
	v_cmp_gt_i32_e32 vcc_lo, 1, v14
	v_or_b32_e32 v13, v20, v13
	v_cndmask_b32_e32 v15, v17, v15, vcc_lo
	v_cmp_gt_i32_e32 vcc_lo, 1, v16
	v_and_b32_e32 v17, 7, v15
	v_cndmask_b32_e32 v13, v18, v13, vcc_lo
	v_cmp_ne_u32_e32 vcc_lo, 0, v9
	v_lshrrev_b32_e32 v15, 2, v15
	v_cmp_eq_u32_e64 s0, 3, v17
	v_and_b32_e32 v18, 7, v13
	v_cndmask_b32_e64 v9, 0, 1, vcc_lo
	v_cmp_ne_u32_e32 vcc_lo, 0, v11
	v_lshrrev_b32_e32 v13, 2, v13
	v_cmp_lt_i32_e64 s1, 5, v18
	v_cmp_eq_u32_e64 s2, 3, v18
	v_cndmask_b32_e64 v11, 0, 1, vcc_lo
	v_cmp_lt_i32_e32 vcc_lo, 5, v17
	v_lshl_or_b32 v9, v9, 9, 0x7c00
	v_lshl_or_b32 v11, v11, 9, 0x7c00
	s_or_b32 vcc_lo, s0, vcc_lo
	v_add_co_ci_u32_e32 v15, vcc_lo, 0, v15, vcc_lo
	s_or_b32 vcc_lo, s2, s1
	v_add_co_ci_u32_e32 v13, vcc_lo, 0, v13, vcc_lo
	v_cmp_gt_i32_e32 vcc_lo, 31, v14
	v_cndmask_b32_e32 v15, 0x7c00, v15, vcc_lo
	v_cmp_gt_i32_e32 vcc_lo, 31, v16
	v_cndmask_b32_e32 v13, 0x7c00, v13, vcc_lo
	v_cmp_eq_u32_e32 vcc_lo, 0x40f, v14
	v_cndmask_b32_e32 v9, v15, v9, vcc_lo
	v_cmp_eq_u32_e32 vcc_lo, 0x40f, v16
	v_and_or_b32 v9, 0x8000, v10, v9
	v_cndmask_b32_e32 v11, v13, v11, vcc_lo
	v_add_co_u32 v7, vcc_lo, v7, s4
	v_add_co_ci_u32_e32 v8, vcc_lo, s3, v8, vcc_lo
	v_and_or_b32 v10, 0x8000, v12, v11
	v_and_b32_e32 v9, 0xffff, v9
	v_lshl_or_b32 v9, v10, 16, v9
	global_store_dword v[7:8], v9, off
	global_load_dword v11, v47, s[8:9] offset:1092
	ds_read2_b32 v[9:10], v0 offset0:17 offset1:108
	s_waitcnt lgkmcnt(0)
	v_lshrrev_b32_e32 v0, 16, v9
	s_waitcnt vmcnt(0)
	v_mul_f16_sdwa v12, v0, v11 dst_sel:DWORD dst_unused:UNUSED_PAD src0_sel:DWORD src1_sel:WORD_1
	v_mul_f16_sdwa v13, v9, v11 dst_sel:DWORD dst_unused:UNUSED_PAD src0_sel:DWORD src1_sel:WORD_1
	v_fmac_f16_e32 v12, v9, v11
	v_fma_f16 v0, v11, v0, -v13
	v_cvt_f32_f16_e32 v9, v12
	v_cvt_f32_f16_e32 v0, v0
	v_cvt_f64_f32_e32 v[11:12], v9
	v_cvt_f64_f32_e32 v[13:14], v0
	v_mul_f64 v[11:12], v[11:12], s[12:13]
	v_mul_f64 v[13:14], v[13:14], s[12:13]
	v_and_or_b32 v0, 0x1ff, v12, v11
	v_and_or_b32 v13, 0x1ff, v14, v13
	v_lshrrev_b32_e32 v9, 8, v12
	v_bfe_u32 v11, v12, 20, 11
	v_lshrrev_b32_e32 v15, 8, v14
	v_cmp_ne_u32_e32 vcc_lo, 0, v0
	v_bfe_u32 v16, v14, 20, 11
	v_lshrrev_b32_e32 v12, 16, v12
	v_sub_nc_u32_e32 v17, 0x3f1, v11
	v_add_nc_u32_e32 v11, 0xfffffc10, v11
	v_cndmask_b32_e64 v0, 0, 1, vcc_lo
	v_cmp_ne_u32_e32 vcc_lo, 0, v13
	v_and_or_b32 v0, 0xffe, v9, v0
	v_cndmask_b32_e64 v13, 0, 1, vcc_lo
	v_sub_nc_u32_e32 v9, 0x3f1, v16
	v_add_nc_u32_e32 v16, 0xfffffc10, v16
	v_and_or_b32 v13, 0xffe, v15, v13
	v_med3_i32 v15, v17, 0, 13
	v_or_b32_e32 v17, 0x1000, v0
	v_med3_i32 v9, v9, 0, 13
	v_or_b32_e32 v18, 0x1000, v13
	v_lshrrev_b32_e32 v19, v15, v17
	v_lshrrev_b32_e32 v20, v9, v18
	v_lshlrev_b32_e32 v15, v15, v19
	v_lshlrev_b32_e32 v9, v9, v20
	v_cmp_ne_u32_e32 vcc_lo, v15, v17
	v_lshl_or_b32 v17, v11, 12, v0
	v_cndmask_b32_e64 v15, 0, 1, vcc_lo
	v_cmp_ne_u32_e32 vcc_lo, v9, v18
	v_lshl_or_b32 v18, v16, 12, v13
	v_or_b32_e32 v15, v19, v15
	v_cndmask_b32_e64 v9, 0, 1, vcc_lo
	v_cmp_gt_i32_e32 vcc_lo, 1, v11
	v_or_b32_e32 v9, v20, v9
	v_cndmask_b32_e32 v15, v17, v15, vcc_lo
	v_cmp_gt_i32_e32 vcc_lo, 1, v16
	v_and_b32_e32 v17, 7, v15
	v_cndmask_b32_e32 v9, v18, v9, vcc_lo
	v_cmp_ne_u32_e32 vcc_lo, 0, v0
	v_lshrrev_b32_e32 v15, 2, v15
	v_cmp_eq_u32_e64 s0, 3, v17
	v_and_b32_e32 v18, 7, v9
	v_cndmask_b32_e64 v0, 0, 1, vcc_lo
	v_cmp_ne_u32_e32 vcc_lo, 0, v13
	v_lshrrev_b32_e32 v9, 2, v9
	v_cmp_lt_i32_e64 s1, 5, v18
	v_cmp_eq_u32_e64 s2, 3, v18
	v_cndmask_b32_e64 v13, 0, 1, vcc_lo
	v_cmp_lt_i32_e32 vcc_lo, 5, v17
	v_lshl_or_b32 v0, v0, 9, 0x7c00
	v_lshl_or_b32 v13, v13, 9, 0x7c00
	s_or_b32 vcc_lo, s0, vcc_lo
	v_add_co_ci_u32_e32 v15, vcc_lo, 0, v15, vcc_lo
	s_or_b32 vcc_lo, s2, s1
	v_add_co_ci_u32_e32 v9, vcc_lo, 0, v9, vcc_lo
	v_cmp_gt_i32_e32 vcc_lo, 31, v11
	v_cndmask_b32_e32 v15, 0x7c00, v15, vcc_lo
	v_cmp_gt_i32_e32 vcc_lo, 31, v16
	v_cndmask_b32_e32 v9, 0x7c00, v9, vcc_lo
	v_cmp_eq_u32_e32 vcc_lo, 0x40f, v11
	v_lshrrev_b32_e32 v11, 16, v14
	v_cndmask_b32_e32 v0, v15, v0, vcc_lo
	v_cmp_eq_u32_e32 vcc_lo, 0x40f, v16
	v_and_or_b32 v0, 0x8000, v12, v0
	v_cndmask_b32_e32 v9, v9, v13, vcc_lo
	v_add_co_u32 v7, vcc_lo, v7, s4
	v_add_co_ci_u32_e32 v8, vcc_lo, s3, v8, vcc_lo
	v_and_or_b32 v9, 0x8000, v11, v9
	v_and_b32_e32 v0, 0xffff, v0
	v_lshl_or_b32 v0, v9, 16, v0
	v_lshrrev_b32_e32 v9, 16, v10
	global_store_dword v[7:8], v0, off
	global_load_dword v0, v47, s[8:9] offset:1456
	s_waitcnt vmcnt(0)
	v_mul_f16_sdwa v11, v9, v0 dst_sel:DWORD dst_unused:UNUSED_PAD src0_sel:DWORD src1_sel:WORD_1
	v_mul_f16_sdwa v12, v10, v0 dst_sel:DWORD dst_unused:UNUSED_PAD src0_sel:DWORD src1_sel:WORD_1
	v_fmac_f16_e32 v11, v10, v0
	v_fma_f16 v0, v0, v9, -v12
	v_cvt_f32_f16_e32 v9, v11
	v_cvt_f32_f16_e32 v0, v0
	v_cvt_f64_f32_e32 v[9:10], v9
	v_cvt_f64_f32_e32 v[11:12], v0
	v_mul_f64 v[9:10], v[9:10], s[12:13]
	v_mul_f64 v[11:12], v[11:12], s[12:13]
	v_and_or_b32 v0, 0x1ff, v10, v9
	v_and_or_b32 v11, 0x1ff, v12, v11
	v_lshrrev_b32_e32 v9, 8, v10
	v_bfe_u32 v13, v10, 20, 11
	v_lshrrev_b32_e32 v14, 8, v12
	v_cmp_ne_u32_e32 vcc_lo, 0, v0
	v_bfe_u32 v15, v12, 20, 11
	v_lshrrev_b32_e32 v10, 16, v10
	v_sub_nc_u32_e32 v16, 0x3f1, v13
	v_add_nc_u32_e32 v13, 0xfffffc10, v13
	v_cndmask_b32_e64 v0, 0, 1, vcc_lo
	v_cmp_ne_u32_e32 vcc_lo, 0, v11
	v_lshrrev_b32_e32 v12, 16, v12
	v_and_or_b32 v0, 0xffe, v9, v0
	v_cndmask_b32_e64 v11, 0, 1, vcc_lo
	v_sub_nc_u32_e32 v9, 0x3f1, v15
	v_add_nc_u32_e32 v15, 0xfffffc10, v15
	v_and_or_b32 v11, 0xffe, v14, v11
	v_med3_i32 v14, v16, 0, 13
	v_or_b32_e32 v16, 0x1000, v0
	v_med3_i32 v9, v9, 0, 13
	v_or_b32_e32 v17, 0x1000, v11
	v_lshrrev_b32_e32 v18, v14, v16
	v_lshrrev_b32_e32 v19, v9, v17
	v_lshlrev_b32_e32 v14, v14, v18
	v_lshlrev_b32_e32 v9, v9, v19
	v_cmp_ne_u32_e32 vcc_lo, v14, v16
	v_lshl_or_b32 v16, v13, 12, v0
	v_cndmask_b32_e64 v14, 0, 1, vcc_lo
	v_cmp_ne_u32_e32 vcc_lo, v9, v17
	v_lshl_or_b32 v17, v15, 12, v11
	v_or_b32_e32 v14, v18, v14
	v_cndmask_b32_e64 v9, 0, 1, vcc_lo
	v_cmp_gt_i32_e32 vcc_lo, 1, v13
	v_or_b32_e32 v9, v19, v9
	v_cndmask_b32_e32 v14, v16, v14, vcc_lo
	v_cmp_gt_i32_e32 vcc_lo, 1, v15
	v_and_b32_e32 v16, 7, v14
	v_cndmask_b32_e32 v9, v17, v9, vcc_lo
	v_cmp_ne_u32_e32 vcc_lo, 0, v0
	v_lshrrev_b32_e32 v14, 2, v14
	v_cmp_eq_u32_e64 s0, 3, v16
	v_and_b32_e32 v17, 7, v9
	v_cndmask_b32_e64 v0, 0, 1, vcc_lo
	v_cmp_ne_u32_e32 vcc_lo, 0, v11
	v_lshrrev_b32_e32 v9, 2, v9
	v_cmp_lt_i32_e64 s1, 5, v17
	v_cmp_eq_u32_e64 s2, 3, v17
	v_cndmask_b32_e64 v11, 0, 1, vcc_lo
	v_cmp_lt_i32_e32 vcc_lo, 5, v16
	v_lshl_or_b32 v0, v0, 9, 0x7c00
	v_lshl_or_b32 v11, v11, 9, 0x7c00
	s_or_b32 vcc_lo, s0, vcc_lo
	v_add_co_ci_u32_e32 v14, vcc_lo, 0, v14, vcc_lo
	s_or_b32 vcc_lo, s2, s1
	v_add_co_ci_u32_e32 v9, vcc_lo, 0, v9, vcc_lo
	v_cmp_gt_i32_e32 vcc_lo, 31, v13
	v_cndmask_b32_e32 v14, 0x7c00, v14, vcc_lo
	v_cmp_gt_i32_e32 vcc_lo, 31, v15
	v_cndmask_b32_e32 v9, 0x7c00, v9, vcc_lo
	v_cmp_eq_u32_e32 vcc_lo, 0x40f, v13
	v_cndmask_b32_e32 v0, v14, v0, vcc_lo
	v_cmp_eq_u32_e32 vcc_lo, 0x40f, v15
	v_and_or_b32 v0, 0x8000, v10, v0
	v_cndmask_b32_e32 v9, v9, v11, vcc_lo
	v_and_b32_e32 v0, 0xffff, v0
	v_and_or_b32 v11, 0x8000, v12, v9
	v_add_co_u32 v9, vcc_lo, v7, s4
	v_add_co_ci_u32_e32 v10, vcc_lo, s3, v8, vcc_lo
	v_lshl_or_b32 v0, v11, 16, v0
	ds_read2_b32 v[11:12], v1 offset0:71 offset1:162
	global_store_dword v[9:10], v0, off
	global_load_dword v0, v47, s[8:9] offset:1820
	s_waitcnt lgkmcnt(0)
	v_lshrrev_b32_e32 v1, 16, v11
	s_waitcnt vmcnt(0)
	v_mul_f16_sdwa v7, v1, v0 dst_sel:DWORD dst_unused:UNUSED_PAD src0_sel:DWORD src1_sel:WORD_1
	v_mul_f16_sdwa v8, v11, v0 dst_sel:DWORD dst_unused:UNUSED_PAD src0_sel:DWORD src1_sel:WORD_1
	v_fmac_f16_e32 v7, v11, v0
	v_fma_f16 v0, v0, v1, -v8
	v_cvt_f32_f16_e32 v1, v7
	v_cvt_f32_f16_e32 v7, v0
	v_cvt_f64_f32_e32 v[0:1], v1
	v_cvt_f64_f32_e32 v[7:8], v7
	v_mul_f64 v[0:1], v[0:1], s[12:13]
	v_mul_f64 v[7:8], v[7:8], s[12:13]
	v_and_or_b32 v0, 0x1ff, v1, v0
	v_and_or_b32 v7, 0x1ff, v8, v7
	v_lshrrev_b32_e32 v11, 8, v1
	v_bfe_u32 v13, v1, 20, 11
	v_lshrrev_b32_e32 v14, 8, v8
	v_cmp_ne_u32_e32 vcc_lo, 0, v0
	v_bfe_u32 v15, v8, 20, 11
	v_lshrrev_b32_e32 v1, 16, v1
	v_sub_nc_u32_e32 v16, 0x3f1, v13
	v_add_nc_u32_e32 v13, 0xfffffc10, v13
	v_cndmask_b32_e64 v0, 0, 1, vcc_lo
	v_cmp_ne_u32_e32 vcc_lo, 0, v7
	v_and_or_b32 v0, 0xffe, v11, v0
	v_cndmask_b32_e64 v7, 0, 1, vcc_lo
	v_sub_nc_u32_e32 v11, 0x3f1, v15
	v_add_nc_u32_e32 v15, 0xfffffc10, v15
	v_and_or_b32 v7, 0xffe, v14, v7
	v_med3_i32 v14, v16, 0, 13
	v_or_b32_e32 v16, 0x1000, v0
	v_med3_i32 v11, v11, 0, 13
	v_or_b32_e32 v17, 0x1000, v7
	v_lshrrev_b32_e32 v18, v14, v16
	v_lshrrev_b32_e32 v19, v11, v17
	v_lshlrev_b32_e32 v14, v14, v18
	v_lshlrev_b32_e32 v11, v11, v19
	v_cmp_ne_u32_e32 vcc_lo, v14, v16
	v_lshl_or_b32 v16, v13, 12, v0
	v_cndmask_b32_e64 v14, 0, 1, vcc_lo
	v_cmp_ne_u32_e32 vcc_lo, v11, v17
	v_lshl_or_b32 v17, v15, 12, v7
	v_or_b32_e32 v14, v18, v14
	v_cndmask_b32_e64 v11, 0, 1, vcc_lo
	v_cmp_gt_i32_e32 vcc_lo, 1, v13
	v_or_b32_e32 v11, v19, v11
	v_cndmask_b32_e32 v14, v16, v14, vcc_lo
	v_cmp_gt_i32_e32 vcc_lo, 1, v15
	v_and_b32_e32 v16, 7, v14
	v_cndmask_b32_e32 v11, v17, v11, vcc_lo
	v_cmp_ne_u32_e32 vcc_lo, 0, v0
	v_lshrrev_b32_e32 v14, 2, v14
	v_cmp_eq_u32_e64 s0, 3, v16
	v_and_b32_e32 v17, 7, v11
	v_cndmask_b32_e64 v0, 0, 1, vcc_lo
	v_cmp_ne_u32_e32 vcc_lo, 0, v7
	v_lshrrev_b32_e32 v11, 2, v11
	v_cmp_lt_i32_e64 s1, 5, v17
	v_cmp_eq_u32_e64 s2, 3, v17
	v_cndmask_b32_e64 v7, 0, 1, vcc_lo
	v_cmp_lt_i32_e32 vcc_lo, 5, v16
	v_lshl_or_b32 v0, v0, 9, 0x7c00
	v_lshl_or_b32 v7, v7, 9, 0x7c00
	s_or_b32 vcc_lo, s0, vcc_lo
	v_add_co_ci_u32_e32 v14, vcc_lo, 0, v14, vcc_lo
	s_or_b32 vcc_lo, s2, s1
	v_add_co_ci_u32_e32 v11, vcc_lo, 0, v11, vcc_lo
	v_cmp_gt_i32_e32 vcc_lo, 31, v13
	v_cndmask_b32_e32 v14, 0x7c00, v14, vcc_lo
	v_cmp_gt_i32_e32 vcc_lo, 31, v15
	v_cndmask_b32_e32 v11, 0x7c00, v11, vcc_lo
	v_cmp_eq_u32_e32 vcc_lo, 0x40f, v13
	v_lshrrev_b32_e32 v13, 16, v8
	v_cndmask_b32_e32 v0, v14, v0, vcc_lo
	v_cmp_eq_u32_e32 vcc_lo, 0x40f, v15
	v_and_or_b32 v0, 0x8000, v1, v0
	v_cndmask_b32_e32 v11, v11, v7, vcc_lo
	v_add_co_u32 v7, s0, s8, v47
	v_add_co_ci_u32_e64 v8, null, s9, 0, s0
	v_and_or_b32 v1, 0x8000, v13, v11
	v_and_b32_e32 v0, 0xffff, v0
	v_add_co_u32 v9, vcc_lo, v9, s4
	v_add_co_ci_u32_e32 v10, vcc_lo, s3, v10, vcc_lo
	v_lshl_or_b32 v11, v1, 16, v0
	v_add_co_u32 v0, vcc_lo, 0x800, v7
	v_add_co_ci_u32_e32 v1, vcc_lo, 0, v8, vcc_lo
	global_store_dword v[9:10], v11, off
	v_lshrrev_b32_e32 v13, 16, v12
	global_load_dword v11, v[0:1], off offset:136
	s_waitcnt vmcnt(0)
	v_mul_f16_sdwa v14, v13, v11 dst_sel:DWORD dst_unused:UNUSED_PAD src0_sel:DWORD src1_sel:WORD_1
	v_mul_f16_sdwa v15, v12, v11 dst_sel:DWORD dst_unused:UNUSED_PAD src0_sel:DWORD src1_sel:WORD_1
	v_fmac_f16_e32 v14, v12, v11
	v_fma_f16 v11, v11, v13, -v15
	v_cvt_f32_f16_e32 v12, v14
	v_cvt_f32_f16_e32 v13, v11
	v_cvt_f64_f32_e32 v[11:12], v12
	v_cvt_f64_f32_e32 v[13:14], v13
	v_mul_f64 v[11:12], v[11:12], s[12:13]
	v_mul_f64 v[13:14], v[13:14], s[12:13]
	v_and_or_b32 v11, 0x1ff, v12, v11
	v_and_or_b32 v13, 0x1ff, v14, v13
	v_lshrrev_b32_e32 v15, 8, v12
	v_bfe_u32 v16, v12, 20, 11
	v_lshrrev_b32_e32 v17, 8, v14
	v_cmp_ne_u32_e32 vcc_lo, 0, v11
	v_bfe_u32 v18, v14, 20, 11
	v_lshrrev_b32_e32 v12, 16, v12
	v_sub_nc_u32_e32 v19, 0x3f1, v16
	v_add_nc_u32_e32 v16, 0xfffffc10, v16
	v_cndmask_b32_e64 v11, 0, 1, vcc_lo
	v_cmp_ne_u32_e32 vcc_lo, 0, v13
	v_lshrrev_b32_e32 v14, 16, v14
	v_and_or_b32 v11, 0xffe, v15, v11
	v_cndmask_b32_e64 v13, 0, 1, vcc_lo
	v_sub_nc_u32_e32 v15, 0x3f1, v18
	v_add_nc_u32_e32 v18, 0xfffffc10, v18
	v_and_or_b32 v13, 0xffe, v17, v13
	v_med3_i32 v17, v19, 0, 13
	v_or_b32_e32 v19, 0x1000, v11
	v_med3_i32 v15, v15, 0, 13
	v_or_b32_e32 v20, 0x1000, v13
	v_lshrrev_b32_e32 v21, v17, v19
	v_lshrrev_b32_e32 v22, v15, v20
	v_lshlrev_b32_e32 v17, v17, v21
	v_lshlrev_b32_e32 v15, v15, v22
	v_cmp_ne_u32_e32 vcc_lo, v17, v19
	v_lshl_or_b32 v19, v16, 12, v11
	v_cndmask_b32_e64 v17, 0, 1, vcc_lo
	v_cmp_ne_u32_e32 vcc_lo, v15, v20
	v_lshl_or_b32 v20, v18, 12, v13
	v_or_b32_e32 v17, v21, v17
	v_cndmask_b32_e64 v15, 0, 1, vcc_lo
	v_cmp_gt_i32_e32 vcc_lo, 1, v16
	v_or_b32_e32 v15, v22, v15
	v_cndmask_b32_e32 v17, v19, v17, vcc_lo
	v_cmp_gt_i32_e32 vcc_lo, 1, v18
	v_and_b32_e32 v19, 7, v17
	v_cndmask_b32_e32 v15, v20, v15, vcc_lo
	v_cmp_ne_u32_e32 vcc_lo, 0, v11
	v_lshrrev_b32_e32 v17, 2, v17
	v_cmp_eq_u32_e64 s0, 3, v19
	v_and_b32_e32 v20, 7, v15
	v_cndmask_b32_e64 v11, 0, 1, vcc_lo
	v_cmp_ne_u32_e32 vcc_lo, 0, v13
	v_lshrrev_b32_e32 v15, 2, v15
	v_cmp_lt_i32_e64 s1, 5, v20
	v_cmp_eq_u32_e64 s2, 3, v20
	v_cndmask_b32_e64 v13, 0, 1, vcc_lo
	v_cmp_lt_i32_e32 vcc_lo, 5, v19
	v_lshl_or_b32 v11, v11, 9, 0x7c00
	v_lshl_or_b32 v13, v13, 9, 0x7c00
	s_or_b32 vcc_lo, s0, vcc_lo
	v_add_co_ci_u32_e32 v17, vcc_lo, 0, v17, vcc_lo
	s_or_b32 vcc_lo, s2, s1
	v_add_co_ci_u32_e32 v15, vcc_lo, 0, v15, vcc_lo
	v_cmp_gt_i32_e32 vcc_lo, 31, v16
	v_cndmask_b32_e32 v17, 0x7c00, v17, vcc_lo
	v_cmp_gt_i32_e32 vcc_lo, 31, v18
	v_cndmask_b32_e32 v15, 0x7c00, v15, vcc_lo
	v_cmp_eq_u32_e32 vcc_lo, 0x40f, v16
	v_cndmask_b32_e32 v11, v17, v11, vcc_lo
	v_cmp_eq_u32_e32 vcc_lo, 0x40f, v18
	v_and_or_b32 v11, 0x8000, v12, v11
	v_cndmask_b32_e32 v13, v15, v13, vcc_lo
	v_add_co_u32 v9, vcc_lo, v9, s4
	v_add_co_ci_u32_e32 v10, vcc_lo, s3, v10, vcc_lo
	v_and_or_b32 v12, 0x8000, v14, v13
	v_and_b32_e32 v11, 0xffff, v11
	v_lshl_or_b32 v11, v12, 16, v11
	global_store_dword v[9:10], v11, off
	global_load_dword v13, v[0:1], off offset:500
	ds_read2_b32 v[11:12], v5 offset0:125 offset1:216
	s_waitcnt lgkmcnt(0)
	v_lshrrev_b32_e32 v5, 16, v11
	s_waitcnt vmcnt(0)
	v_mul_f16_sdwa v14, v5, v13 dst_sel:DWORD dst_unused:UNUSED_PAD src0_sel:DWORD src1_sel:WORD_1
	v_mul_f16_sdwa v15, v11, v13 dst_sel:DWORD dst_unused:UNUSED_PAD src0_sel:DWORD src1_sel:WORD_1
	v_fmac_f16_e32 v14, v11, v13
	v_fma_f16 v5, v13, v5, -v15
	v_cvt_f32_f16_e32 v11, v14
	v_cvt_f32_f16_e32 v5, v5
	v_cvt_f64_f32_e32 v[13:14], v11
	v_cvt_f64_f32_e32 v[15:16], v5
	v_mul_f64 v[13:14], v[13:14], s[12:13]
	v_mul_f64 v[15:16], v[15:16], s[12:13]
	v_and_or_b32 v5, 0x1ff, v14, v13
	v_and_or_b32 v15, 0x1ff, v16, v15
	v_lshrrev_b32_e32 v11, 8, v14
	v_bfe_u32 v13, v14, 20, 11
	v_lshrrev_b32_e32 v17, 8, v16
	v_cmp_ne_u32_e32 vcc_lo, 0, v5
	v_bfe_u32 v18, v16, 20, 11
	v_lshrrev_b32_e32 v14, 16, v14
	v_sub_nc_u32_e32 v19, 0x3f1, v13
	v_add_nc_u32_e32 v13, 0xfffffc10, v13
	v_cndmask_b32_e64 v5, 0, 1, vcc_lo
	v_cmp_ne_u32_e32 vcc_lo, 0, v15
	v_and_or_b32 v5, 0xffe, v11, v5
	v_cndmask_b32_e64 v15, 0, 1, vcc_lo
	v_sub_nc_u32_e32 v11, 0x3f1, v18
	v_add_nc_u32_e32 v18, 0xfffffc10, v18
	v_and_or_b32 v15, 0xffe, v17, v15
	v_med3_i32 v17, v19, 0, 13
	v_or_b32_e32 v19, 0x1000, v5
	v_med3_i32 v11, v11, 0, 13
	v_or_b32_e32 v20, 0x1000, v15
	v_lshrrev_b32_e32 v21, v17, v19
	v_lshrrev_b32_e32 v22, v11, v20
	v_lshlrev_b32_e32 v17, v17, v21
	v_lshlrev_b32_e32 v11, v11, v22
	v_cmp_ne_u32_e32 vcc_lo, v17, v19
	v_lshl_or_b32 v19, v13, 12, v5
	v_cndmask_b32_e64 v17, 0, 1, vcc_lo
	v_cmp_ne_u32_e32 vcc_lo, v11, v20
	v_lshl_or_b32 v20, v18, 12, v15
	v_or_b32_e32 v17, v21, v17
	v_cndmask_b32_e64 v11, 0, 1, vcc_lo
	v_cmp_gt_i32_e32 vcc_lo, 1, v13
	v_or_b32_e32 v11, v22, v11
	v_cndmask_b32_e32 v17, v19, v17, vcc_lo
	v_cmp_gt_i32_e32 vcc_lo, 1, v18
	v_and_b32_e32 v19, 7, v17
	v_cndmask_b32_e32 v11, v20, v11, vcc_lo
	v_cmp_ne_u32_e32 vcc_lo, 0, v5
	v_lshrrev_b32_e32 v17, 2, v17
	v_cmp_eq_u32_e64 s0, 3, v19
	v_and_b32_e32 v20, 7, v11
	v_cndmask_b32_e64 v5, 0, 1, vcc_lo
	v_cmp_ne_u32_e32 vcc_lo, 0, v15
	v_lshrrev_b32_e32 v11, 2, v11
	v_cmp_lt_i32_e64 s1, 5, v20
	v_cmp_eq_u32_e64 s2, 3, v20
	v_cndmask_b32_e64 v15, 0, 1, vcc_lo
	v_cmp_lt_i32_e32 vcc_lo, 5, v19
	v_lshl_or_b32 v5, v5, 9, 0x7c00
	v_lshl_or_b32 v15, v15, 9, 0x7c00
	s_or_b32 vcc_lo, s0, vcc_lo
	v_add_co_ci_u32_e32 v17, vcc_lo, 0, v17, vcc_lo
	s_or_b32 vcc_lo, s2, s1
	v_add_co_ci_u32_e32 v11, vcc_lo, 0, v11, vcc_lo
	v_cmp_gt_i32_e32 vcc_lo, 31, v13
	v_cndmask_b32_e32 v17, 0x7c00, v17, vcc_lo
	v_cmp_gt_i32_e32 vcc_lo, 31, v18
	v_cndmask_b32_e32 v11, 0x7c00, v11, vcc_lo
	v_cmp_eq_u32_e32 vcc_lo, 0x40f, v13
	v_lshrrev_b32_e32 v13, 16, v16
	v_cndmask_b32_e32 v5, v17, v5, vcc_lo
	v_cmp_eq_u32_e32 vcc_lo, 0x40f, v18
	v_and_or_b32 v5, 0x8000, v14, v5
	v_cndmask_b32_e32 v11, v11, v15, vcc_lo
	v_add_co_u32 v9, vcc_lo, v9, s4
	v_add_co_ci_u32_e32 v10, vcc_lo, s3, v10, vcc_lo
	v_and_or_b32 v11, 0x8000, v13, v11
	v_and_b32_e32 v5, 0xffff, v5
	v_lshl_or_b32 v5, v11, 16, v5
	v_lshrrev_b32_e32 v11, 16, v12
	global_store_dword v[9:10], v5, off
	global_load_dword v5, v[0:1], off offset:864
	s_waitcnt vmcnt(0)
	v_mul_f16_sdwa v13, v11, v5 dst_sel:DWORD dst_unused:UNUSED_PAD src0_sel:DWORD src1_sel:WORD_1
	v_mul_f16_sdwa v14, v12, v5 dst_sel:DWORD dst_unused:UNUSED_PAD src0_sel:DWORD src1_sel:WORD_1
	v_fmac_f16_e32 v13, v12, v5
	v_fma_f16 v5, v5, v11, -v14
	v_cvt_f32_f16_e32 v11, v13
	v_cvt_f32_f16_e32 v5, v5
	v_cvt_f64_f32_e32 v[11:12], v11
	v_cvt_f64_f32_e32 v[13:14], v5
	v_mul_f64 v[11:12], v[11:12], s[12:13]
	v_mul_f64 v[13:14], v[13:14], s[12:13]
	v_and_or_b32 v5, 0x1ff, v12, v11
	v_and_or_b32 v13, 0x1ff, v14, v13
	v_lshrrev_b32_e32 v11, 8, v12
	v_bfe_u32 v15, v12, 20, 11
	v_lshrrev_b32_e32 v16, 8, v14
	v_cmp_ne_u32_e32 vcc_lo, 0, v5
	v_bfe_u32 v17, v14, 20, 11
	v_lshrrev_b32_e32 v12, 16, v12
	v_sub_nc_u32_e32 v18, 0x3f1, v15
	v_add_nc_u32_e32 v15, 0xfffffc10, v15
	v_cndmask_b32_e64 v5, 0, 1, vcc_lo
	v_cmp_ne_u32_e32 vcc_lo, 0, v13
	v_lshrrev_b32_e32 v14, 16, v14
	v_and_or_b32 v5, 0xffe, v11, v5
	v_cndmask_b32_e64 v13, 0, 1, vcc_lo
	v_sub_nc_u32_e32 v11, 0x3f1, v17
	v_add_nc_u32_e32 v17, 0xfffffc10, v17
	v_and_or_b32 v13, 0xffe, v16, v13
	v_med3_i32 v16, v18, 0, 13
	v_or_b32_e32 v18, 0x1000, v5
	v_med3_i32 v11, v11, 0, 13
	v_or_b32_e32 v19, 0x1000, v13
	v_lshrrev_b32_e32 v20, v16, v18
	v_lshrrev_b32_e32 v21, v11, v19
	v_lshlrev_b32_e32 v16, v16, v20
	v_lshlrev_b32_e32 v11, v11, v21
	v_cmp_ne_u32_e32 vcc_lo, v16, v18
	v_lshl_or_b32 v18, v15, 12, v5
	v_cndmask_b32_e64 v16, 0, 1, vcc_lo
	v_cmp_ne_u32_e32 vcc_lo, v11, v19
	v_lshl_or_b32 v19, v17, 12, v13
	v_or_b32_e32 v16, v20, v16
	v_cndmask_b32_e64 v11, 0, 1, vcc_lo
	v_cmp_gt_i32_e32 vcc_lo, 1, v15
	v_or_b32_e32 v11, v21, v11
	v_cndmask_b32_e32 v16, v18, v16, vcc_lo
	v_cmp_gt_i32_e32 vcc_lo, 1, v17
	v_and_b32_e32 v18, 7, v16
	v_cndmask_b32_e32 v11, v19, v11, vcc_lo
	v_cmp_ne_u32_e32 vcc_lo, 0, v5
	v_lshrrev_b32_e32 v16, 2, v16
	v_cmp_eq_u32_e64 s0, 3, v18
	v_and_b32_e32 v19, 7, v11
	v_cndmask_b32_e64 v5, 0, 1, vcc_lo
	v_cmp_ne_u32_e32 vcc_lo, 0, v13
	v_lshrrev_b32_e32 v11, 2, v11
	v_cmp_lt_i32_e64 s1, 5, v19
	v_cmp_eq_u32_e64 s2, 3, v19
	v_cndmask_b32_e64 v13, 0, 1, vcc_lo
	v_cmp_lt_i32_e32 vcc_lo, 5, v18
	v_lshl_or_b32 v5, v5, 9, 0x7c00
	v_lshl_or_b32 v13, v13, 9, 0x7c00
	s_or_b32 vcc_lo, s0, vcc_lo
	v_add_co_ci_u32_e32 v16, vcc_lo, 0, v16, vcc_lo
	s_or_b32 vcc_lo, s2, s1
	v_add_co_ci_u32_e32 v11, vcc_lo, 0, v11, vcc_lo
	v_cmp_gt_i32_e32 vcc_lo, 31, v15
	v_cndmask_b32_e32 v16, 0x7c00, v16, vcc_lo
	v_cmp_gt_i32_e32 vcc_lo, 31, v17
	v_cndmask_b32_e32 v11, 0x7c00, v11, vcc_lo
	v_cmp_eq_u32_e32 vcc_lo, 0x40f, v15
	v_cndmask_b32_e32 v5, v16, v5, vcc_lo
	v_cmp_eq_u32_e32 vcc_lo, 0x40f, v17
	v_and_or_b32 v5, 0x8000, v12, v5
	v_cndmask_b32_e32 v11, v11, v13, vcc_lo
	v_add_co_u32 v9, vcc_lo, v9, s4
	v_add_co_ci_u32_e32 v10, vcc_lo, s3, v10, vcc_lo
	v_and_or_b32 v11, 0x8000, v14, v11
	v_and_b32_e32 v5, 0xffff, v5
	v_lshl_or_b32 v5, v11, 16, v5
	global_store_dword v[9:10], v5, off
	global_load_dword v11, v[0:1], off offset:1228
	ds_read2_b32 v[4:5], v4 offset0:51 offset1:142
	s_waitcnt lgkmcnt(0)
	v_lshrrev_b32_e32 v12, 16, v4
	s_waitcnt vmcnt(0)
	v_mul_f16_sdwa v13, v12, v11 dst_sel:DWORD dst_unused:UNUSED_PAD src0_sel:DWORD src1_sel:WORD_1
	v_mul_f16_sdwa v14, v4, v11 dst_sel:DWORD dst_unused:UNUSED_PAD src0_sel:DWORD src1_sel:WORD_1
	v_fmac_f16_e32 v13, v4, v11
	v_fma_f16 v4, v11, v12, -v14
	v_cvt_f32_f16_e32 v11, v13
	v_cvt_f32_f16_e32 v4, v4
	v_cvt_f64_f32_e32 v[11:12], v11
	v_cvt_f64_f32_e32 v[13:14], v4
	v_mul_f64 v[11:12], v[11:12], s[12:13]
	v_mul_f64 v[13:14], v[13:14], s[12:13]
	v_and_or_b32 v4, 0x1ff, v12, v11
	v_and_or_b32 v13, 0x1ff, v14, v13
	v_lshrrev_b32_e32 v11, 8, v12
	v_bfe_u32 v15, v12, 20, 11
	v_lshrrev_b32_e32 v16, 8, v14
	v_cmp_ne_u32_e32 vcc_lo, 0, v4
	v_bfe_u32 v17, v14, 20, 11
	v_lshrrev_b32_e32 v12, 16, v12
	v_sub_nc_u32_e32 v18, 0x3f1, v15
	v_add_nc_u32_e32 v15, 0xfffffc10, v15
	v_cndmask_b32_e64 v4, 0, 1, vcc_lo
	v_cmp_ne_u32_e32 vcc_lo, 0, v13
	v_lshrrev_b32_e32 v14, 16, v14
	v_and_or_b32 v4, 0xffe, v11, v4
	v_cndmask_b32_e64 v13, 0, 1, vcc_lo
	v_sub_nc_u32_e32 v11, 0x3f1, v17
	v_add_nc_u32_e32 v17, 0xfffffc10, v17
	v_and_or_b32 v13, 0xffe, v16, v13
	v_med3_i32 v16, v18, 0, 13
	v_or_b32_e32 v18, 0x1000, v4
	v_med3_i32 v11, v11, 0, 13
	v_or_b32_e32 v19, 0x1000, v13
	v_lshrrev_b32_e32 v20, v16, v18
	v_lshrrev_b32_e32 v21, v11, v19
	v_lshlrev_b32_e32 v16, v16, v20
	v_lshlrev_b32_e32 v11, v11, v21
	v_cmp_ne_u32_e32 vcc_lo, v16, v18
	v_lshl_or_b32 v18, v15, 12, v4
	v_cndmask_b32_e64 v16, 0, 1, vcc_lo
	v_cmp_ne_u32_e32 vcc_lo, v11, v19
	v_lshl_or_b32 v19, v17, 12, v13
	v_or_b32_e32 v16, v20, v16
	v_cndmask_b32_e64 v11, 0, 1, vcc_lo
	v_cmp_gt_i32_e32 vcc_lo, 1, v15
	v_or_b32_e32 v11, v21, v11
	v_cndmask_b32_e32 v16, v18, v16, vcc_lo
	v_cmp_gt_i32_e32 vcc_lo, 1, v17
	v_and_b32_e32 v18, 7, v16
	v_cndmask_b32_e32 v11, v19, v11, vcc_lo
	v_cmp_ne_u32_e32 vcc_lo, 0, v4
	v_lshrrev_b32_e32 v16, 2, v16
	v_cmp_eq_u32_e64 s0, 3, v18
	v_and_b32_e32 v19, 7, v11
	v_cndmask_b32_e64 v4, 0, 1, vcc_lo
	v_cmp_ne_u32_e32 vcc_lo, 0, v13
	v_lshrrev_b32_e32 v11, 2, v11
	v_cmp_lt_i32_e64 s1, 5, v19
	v_cmp_eq_u32_e64 s2, 3, v19
	v_cndmask_b32_e64 v13, 0, 1, vcc_lo
	v_cmp_lt_i32_e32 vcc_lo, 5, v18
	v_lshl_or_b32 v4, v4, 9, 0x7c00
	v_lshl_or_b32 v13, v13, 9, 0x7c00
	s_or_b32 vcc_lo, s0, vcc_lo
	v_add_co_ci_u32_e32 v16, vcc_lo, 0, v16, vcc_lo
	s_or_b32 vcc_lo, s2, s1
	v_add_co_ci_u32_e32 v11, vcc_lo, 0, v11, vcc_lo
	v_cmp_gt_i32_e32 vcc_lo, 31, v15
	v_cndmask_b32_e32 v16, 0x7c00, v16, vcc_lo
	v_cmp_gt_i32_e32 vcc_lo, 31, v17
	v_cndmask_b32_e32 v11, 0x7c00, v11, vcc_lo
	v_cmp_eq_u32_e32 vcc_lo, 0x40f, v15
	v_cndmask_b32_e32 v4, v16, v4, vcc_lo
	v_cmp_eq_u32_e32 vcc_lo, 0x40f, v17
	v_and_or_b32 v4, 0x8000, v12, v4
	v_cndmask_b32_e32 v11, v11, v13, vcc_lo
	v_add_co_u32 v9, vcc_lo, v9, s4
	v_add_co_ci_u32_e32 v10, vcc_lo, s3, v10, vcc_lo
	v_and_or_b32 v11, 0x8000, v14, v11
	v_and_b32_e32 v4, 0xffff, v4
	v_lshl_or_b32 v4, v11, 16, v4
	v_lshrrev_b32_e32 v11, 16, v5
	global_store_dword v[9:10], v4, off
	global_load_dword v4, v[0:1], off offset:1592
	s_waitcnt vmcnt(0)
	v_mul_f16_sdwa v12, v11, v4 dst_sel:DWORD dst_unused:UNUSED_PAD src0_sel:DWORD src1_sel:WORD_1
	v_mul_f16_sdwa v13, v5, v4 dst_sel:DWORD dst_unused:UNUSED_PAD src0_sel:DWORD src1_sel:WORD_1
	v_fmac_f16_e32 v12, v5, v4
	v_fma_f16 v4, v4, v11, -v13
	v_cvt_f32_f16_e32 v5, v12
	v_cvt_f32_f16_e32 v11, v4
	v_cvt_f64_f32_e32 v[4:5], v5
	v_cvt_f64_f32_e32 v[11:12], v11
	v_mul_f64 v[4:5], v[4:5], s[12:13]
	v_mul_f64 v[11:12], v[11:12], s[12:13]
	v_and_or_b32 v4, 0x1ff, v5, v4
	v_and_or_b32 v11, 0x1ff, v12, v11
	v_lshrrev_b32_e32 v13, 8, v5
	v_bfe_u32 v14, v5, 20, 11
	v_lshrrev_b32_e32 v15, 8, v12
	v_cmp_ne_u32_e32 vcc_lo, 0, v4
	v_bfe_u32 v16, v12, 20, 11
	v_lshrrev_b32_e32 v5, 16, v5
	v_sub_nc_u32_e32 v17, 0x3f1, v14
	v_add_nc_u32_e32 v14, 0xfffffc10, v14
	v_cndmask_b32_e64 v4, 0, 1, vcc_lo
	v_cmp_ne_u32_e32 vcc_lo, 0, v11
	v_lshrrev_b32_e32 v12, 16, v12
	v_and_or_b32 v4, 0xffe, v13, v4
	v_cndmask_b32_e64 v11, 0, 1, vcc_lo
	v_sub_nc_u32_e32 v13, 0x3f1, v16
	v_add_nc_u32_e32 v16, 0xfffffc10, v16
	v_and_or_b32 v11, 0xffe, v15, v11
	v_med3_i32 v15, v17, 0, 13
	v_or_b32_e32 v17, 0x1000, v4
	v_med3_i32 v13, v13, 0, 13
	v_or_b32_e32 v18, 0x1000, v11
	v_lshrrev_b32_e32 v19, v15, v17
	v_lshrrev_b32_e32 v20, v13, v18
	v_lshlrev_b32_e32 v15, v15, v19
	v_lshlrev_b32_e32 v13, v13, v20
	v_cmp_ne_u32_e32 vcc_lo, v15, v17
	v_lshl_or_b32 v17, v14, 12, v4
	v_cndmask_b32_e64 v15, 0, 1, vcc_lo
	v_cmp_ne_u32_e32 vcc_lo, v13, v18
	v_lshl_or_b32 v18, v16, 12, v11
	v_or_b32_e32 v15, v19, v15
	v_cndmask_b32_e64 v13, 0, 1, vcc_lo
	v_cmp_gt_i32_e32 vcc_lo, 1, v14
	v_or_b32_e32 v13, v20, v13
	v_cndmask_b32_e32 v15, v17, v15, vcc_lo
	v_cmp_gt_i32_e32 vcc_lo, 1, v16
	v_and_b32_e32 v17, 7, v15
	v_cndmask_b32_e32 v13, v18, v13, vcc_lo
	v_cmp_ne_u32_e32 vcc_lo, 0, v4
	v_lshrrev_b32_e32 v15, 2, v15
	v_cmp_eq_u32_e64 s0, 3, v17
	v_and_b32_e32 v18, 7, v13
	v_cndmask_b32_e64 v4, 0, 1, vcc_lo
	v_cmp_ne_u32_e32 vcc_lo, 0, v11
	v_lshrrev_b32_e32 v13, 2, v13
	v_cmp_lt_i32_e64 s1, 5, v18
	v_cmp_eq_u32_e64 s2, 3, v18
	v_cndmask_b32_e64 v11, 0, 1, vcc_lo
	v_cmp_lt_i32_e32 vcc_lo, 5, v17
	v_lshl_or_b32 v4, v4, 9, 0x7c00
	v_lshl_or_b32 v11, v11, 9, 0x7c00
	s_or_b32 vcc_lo, s0, vcc_lo
	v_add_co_ci_u32_e32 v15, vcc_lo, 0, v15, vcc_lo
	s_or_b32 vcc_lo, s2, s1
	v_add_co_ci_u32_e32 v13, vcc_lo, 0, v13, vcc_lo
	v_cmp_gt_i32_e32 vcc_lo, 31, v14
	v_cndmask_b32_e32 v15, 0x7c00, v15, vcc_lo
	v_cmp_gt_i32_e32 vcc_lo, 31, v16
	v_cndmask_b32_e32 v13, 0x7c00, v13, vcc_lo
	v_cmp_eq_u32_e32 vcc_lo, 0x40f, v14
	v_cndmask_b32_e32 v4, v15, v4, vcc_lo
	v_cmp_eq_u32_e32 vcc_lo, 0x40f, v16
	v_and_or_b32 v4, 0x8000, v5, v4
	v_cndmask_b32_e32 v11, v13, v11, vcc_lo
	v_and_or_b32 v11, 0x8000, v12, v11
	v_and_b32_e32 v12, 0xffff, v4
	v_add_co_u32 v4, vcc_lo, v9, s4
	v_add_co_ci_u32_e32 v5, vcc_lo, s3, v10, vcc_lo
	v_lshl_or_b32 v9, v11, 16, v12
	global_store_dword v[4:5], v9, off
	global_load_dword v0, v[0:1], off offset:1956
	ds_read2_b32 v[9:10], v6 offset0:105 offset1:196
	s_waitcnt lgkmcnt(0)
	v_lshrrev_b32_e32 v1, 16, v9
	s_waitcnt vmcnt(0)
	v_mul_f16_sdwa v6, v1, v0 dst_sel:DWORD dst_unused:UNUSED_PAD src0_sel:DWORD src1_sel:WORD_1
	v_mul_f16_sdwa v11, v9, v0 dst_sel:DWORD dst_unused:UNUSED_PAD src0_sel:DWORD src1_sel:WORD_1
	v_fmac_f16_e32 v6, v9, v0
	v_fma_f16 v0, v0, v1, -v11
	v_cvt_f32_f16_e32 v1, v6
	v_cvt_f32_f16_e32 v6, v0
	v_cvt_f64_f32_e32 v[0:1], v1
	v_cvt_f64_f32_e32 v[11:12], v6
	v_mul_f64 v[0:1], v[0:1], s[12:13]
	v_mul_f64 v[11:12], v[11:12], s[12:13]
	v_and_or_b32 v0, 0x1ff, v1, v0
	v_and_or_b32 v11, 0x1ff, v12, v11
	v_lshrrev_b32_e32 v6, 8, v1
	v_bfe_u32 v9, v1, 20, 11
	v_lshrrev_b32_e32 v13, 8, v12
	v_cmp_ne_u32_e32 vcc_lo, 0, v0
	v_bfe_u32 v14, v12, 20, 11
	v_lshrrev_b32_e32 v1, 16, v1
	v_sub_nc_u32_e32 v15, 0x3f1, v9
	v_add_nc_u32_e32 v9, 0xfffffc10, v9
	v_cndmask_b32_e64 v0, 0, 1, vcc_lo
	v_cmp_ne_u32_e32 vcc_lo, 0, v11
	v_and_or_b32 v0, 0xffe, v6, v0
	v_cndmask_b32_e64 v11, 0, 1, vcc_lo
	v_sub_nc_u32_e32 v6, 0x3f1, v14
	v_add_nc_u32_e32 v14, 0xfffffc10, v14
	v_and_or_b32 v11, 0xffe, v13, v11
	v_med3_i32 v13, v15, 0, 13
	v_or_b32_e32 v15, 0x1000, v0
	v_med3_i32 v6, v6, 0, 13
	v_or_b32_e32 v16, 0x1000, v11
	v_lshrrev_b32_e32 v17, v13, v15
	v_lshrrev_b32_e32 v18, v6, v16
	v_lshlrev_b32_e32 v13, v13, v17
	v_lshlrev_b32_e32 v6, v6, v18
	v_cmp_ne_u32_e32 vcc_lo, v13, v15
	v_lshl_or_b32 v15, v9, 12, v0
	v_cndmask_b32_e64 v13, 0, 1, vcc_lo
	v_cmp_ne_u32_e32 vcc_lo, v6, v16
	v_lshl_or_b32 v16, v14, 12, v11
	v_or_b32_e32 v13, v17, v13
	v_cndmask_b32_e64 v6, 0, 1, vcc_lo
	v_cmp_gt_i32_e32 vcc_lo, 1, v9
	v_or_b32_e32 v6, v18, v6
	v_cndmask_b32_e32 v13, v15, v13, vcc_lo
	v_cmp_gt_i32_e32 vcc_lo, 1, v14
	v_and_b32_e32 v15, 7, v13
	v_cndmask_b32_e32 v6, v16, v6, vcc_lo
	v_cmp_ne_u32_e32 vcc_lo, 0, v0
	v_lshrrev_b32_e32 v13, 2, v13
	v_cmp_eq_u32_e64 s0, 3, v15
	v_and_b32_e32 v16, 7, v6
	v_cndmask_b32_e64 v0, 0, 1, vcc_lo
	v_cmp_ne_u32_e32 vcc_lo, 0, v11
	v_lshrrev_b32_e32 v6, 2, v6
	v_cmp_lt_i32_e64 s1, 5, v16
	v_cmp_eq_u32_e64 s2, 3, v16
	v_cndmask_b32_e64 v11, 0, 1, vcc_lo
	v_cmp_lt_i32_e32 vcc_lo, 5, v15
	v_lshl_or_b32 v0, v0, 9, 0x7c00
	v_lshl_or_b32 v11, v11, 9, 0x7c00
	s_or_b32 vcc_lo, s0, vcc_lo
	v_add_co_ci_u32_e32 v13, vcc_lo, 0, v13, vcc_lo
	s_or_b32 vcc_lo, s2, s1
	v_add_co_ci_u32_e32 v6, vcc_lo, 0, v6, vcc_lo
	v_cmp_gt_i32_e32 vcc_lo, 31, v9
	v_cndmask_b32_e32 v13, 0x7c00, v13, vcc_lo
	v_cmp_gt_i32_e32 vcc_lo, 31, v14
	v_cndmask_b32_e32 v6, 0x7c00, v6, vcc_lo
	v_cmp_eq_u32_e32 vcc_lo, 0x40f, v9
	v_lshrrev_b32_e32 v9, 16, v12
	v_cndmask_b32_e32 v0, v13, v0, vcc_lo
	v_cmp_eq_u32_e32 vcc_lo, 0x40f, v14
	v_and_or_b32 v0, 0x8000, v1, v0
	v_cndmask_b32_e32 v6, v6, v11, vcc_lo
	v_add_co_u32 v4, vcc_lo, v4, s4
	v_add_co_ci_u32_e32 v5, vcc_lo, s3, v5, vcc_lo
	v_and_or_b32 v1, 0x8000, v9, v6
	v_and_b32_e32 v0, 0xffff, v0
	v_lshl_or_b32 v6, v1, 16, v0
	v_add_co_u32 v0, vcc_lo, 0x1000, v7
	v_add_co_ci_u32_e32 v1, vcc_lo, 0, v8, vcc_lo
	global_store_dword v[4:5], v6, off
	v_lshrrev_b32_e32 v7, 16, v10
	global_load_dword v6, v[0:1], off offset:272
	s_waitcnt vmcnt(0)
	v_mul_f16_sdwa v8, v7, v6 dst_sel:DWORD dst_unused:UNUSED_PAD src0_sel:DWORD src1_sel:WORD_1
	v_mul_f16_sdwa v9, v10, v6 dst_sel:DWORD dst_unused:UNUSED_PAD src0_sel:DWORD src1_sel:WORD_1
	v_fmac_f16_e32 v8, v10, v6
	v_fma_f16 v6, v6, v7, -v9
	v_cvt_f32_f16_e32 v7, v8
	v_cvt_f32_f16_e32 v8, v6
	v_cvt_f64_f32_e32 v[6:7], v7
	v_cvt_f64_f32_e32 v[8:9], v8
	v_mul_f64 v[6:7], v[6:7], s[12:13]
	v_mul_f64 v[8:9], v[8:9], s[12:13]
	v_and_or_b32 v6, 0x1ff, v7, v6
	v_and_or_b32 v8, 0x1ff, v9, v8
	v_lshrrev_b32_e32 v10, 8, v7
	v_bfe_u32 v11, v7, 20, 11
	v_lshrrev_b32_e32 v12, 8, v9
	v_cmp_ne_u32_e32 vcc_lo, 0, v6
	v_bfe_u32 v13, v9, 20, 11
	v_lshrrev_b32_e32 v7, 16, v7
	v_sub_nc_u32_e32 v14, 0x3f1, v11
	v_add_nc_u32_e32 v11, 0xfffffc10, v11
	v_cndmask_b32_e64 v6, 0, 1, vcc_lo
	v_cmp_ne_u32_e32 vcc_lo, 0, v8
	v_lshrrev_b32_e32 v9, 16, v9
	v_and_or_b32 v6, 0xffe, v10, v6
	v_cndmask_b32_e64 v8, 0, 1, vcc_lo
	v_sub_nc_u32_e32 v10, 0x3f1, v13
	v_add_nc_u32_e32 v13, 0xfffffc10, v13
	v_and_or_b32 v8, 0xffe, v12, v8
	v_med3_i32 v12, v14, 0, 13
	v_or_b32_e32 v14, 0x1000, v6
	v_med3_i32 v10, v10, 0, 13
	v_or_b32_e32 v15, 0x1000, v8
	v_lshrrev_b32_e32 v16, v12, v14
	v_lshrrev_b32_e32 v17, v10, v15
	v_lshlrev_b32_e32 v12, v12, v16
	v_lshlrev_b32_e32 v10, v10, v17
	v_cmp_ne_u32_e32 vcc_lo, v12, v14
	v_lshl_or_b32 v14, v11, 12, v6
	v_cndmask_b32_e64 v12, 0, 1, vcc_lo
	v_cmp_ne_u32_e32 vcc_lo, v10, v15
	v_lshl_or_b32 v15, v13, 12, v8
	v_or_b32_e32 v12, v16, v12
	v_cndmask_b32_e64 v10, 0, 1, vcc_lo
	v_cmp_gt_i32_e32 vcc_lo, 1, v11
	v_or_b32_e32 v10, v17, v10
	v_cndmask_b32_e32 v12, v14, v12, vcc_lo
	v_cmp_gt_i32_e32 vcc_lo, 1, v13
	v_and_b32_e32 v14, 7, v12
	v_cndmask_b32_e32 v10, v15, v10, vcc_lo
	v_cmp_ne_u32_e32 vcc_lo, 0, v6
	v_lshrrev_b32_e32 v12, 2, v12
	v_cmp_eq_u32_e64 s0, 3, v14
	v_and_b32_e32 v15, 7, v10
	v_cndmask_b32_e64 v6, 0, 1, vcc_lo
	v_cmp_ne_u32_e32 vcc_lo, 0, v8
	v_lshrrev_b32_e32 v10, 2, v10
	v_cmp_lt_i32_e64 s1, 5, v15
	v_cmp_eq_u32_e64 s2, 3, v15
	v_cndmask_b32_e64 v8, 0, 1, vcc_lo
	v_cmp_lt_i32_e32 vcc_lo, 5, v14
	v_lshl_or_b32 v6, v6, 9, 0x7c00
	v_lshl_or_b32 v8, v8, 9, 0x7c00
	s_or_b32 vcc_lo, s0, vcc_lo
	v_add_co_ci_u32_e32 v12, vcc_lo, 0, v12, vcc_lo
	s_or_b32 vcc_lo, s2, s1
	v_add_co_ci_u32_e32 v10, vcc_lo, 0, v10, vcc_lo
	v_cmp_gt_i32_e32 vcc_lo, 31, v11
	v_cndmask_b32_e32 v12, 0x7c00, v12, vcc_lo
	v_cmp_gt_i32_e32 vcc_lo, 31, v13
	v_cndmask_b32_e32 v10, 0x7c00, v10, vcc_lo
	v_cmp_eq_u32_e32 vcc_lo, 0x40f, v11
	v_cndmask_b32_e32 v6, v12, v6, vcc_lo
	v_cmp_eq_u32_e32 vcc_lo, 0x40f, v13
	v_and_or_b32 v6, 0x8000, v7, v6
	v_cndmask_b32_e32 v8, v10, v8, vcc_lo
	v_add_co_u32 v4, vcc_lo, v4, s4
	v_add_co_ci_u32_e32 v5, vcc_lo, s3, v5, vcc_lo
	v_and_or_b32 v7, 0x8000, v9, v8
	v_and_b32_e32 v6, 0xffff, v6
	v_lshl_or_b32 v6, v7, 16, v6
	global_store_dword v[4:5], v6, off
	global_load_dword v8, v[0:1], off offset:636
	ds_read2_b32 v[6:7], v3 offset0:159 offset1:250
	s_waitcnt lgkmcnt(0)
	v_lshrrev_b32_e32 v3, 16, v6
	s_waitcnt vmcnt(0)
	v_mul_f16_sdwa v9, v3, v8 dst_sel:DWORD dst_unused:UNUSED_PAD src0_sel:DWORD src1_sel:WORD_1
	v_mul_f16_sdwa v10, v6, v8 dst_sel:DWORD dst_unused:UNUSED_PAD src0_sel:DWORD src1_sel:WORD_1
	v_fmac_f16_e32 v9, v6, v8
	v_fma_f16 v3, v8, v3, -v10
	v_cvt_f32_f16_e32 v6, v9
	v_cvt_f32_f16_e32 v3, v3
	v_cvt_f64_f32_e32 v[8:9], v6
	v_cvt_f64_f32_e32 v[10:11], v3
	v_mul_f64 v[8:9], v[8:9], s[12:13]
	v_mul_f64 v[10:11], v[10:11], s[12:13]
	v_and_or_b32 v3, 0x1ff, v9, v8
	v_and_or_b32 v10, 0x1ff, v11, v10
	v_lshrrev_b32_e32 v6, 8, v9
	v_bfe_u32 v8, v9, 20, 11
	v_lshrrev_b32_e32 v12, 8, v11
	v_cmp_ne_u32_e32 vcc_lo, 0, v3
	v_bfe_u32 v13, v11, 20, 11
	v_lshrrev_b32_e32 v9, 16, v9
	v_sub_nc_u32_e32 v14, 0x3f1, v8
	v_add_nc_u32_e32 v8, 0xfffffc10, v8
	v_cndmask_b32_e64 v3, 0, 1, vcc_lo
	v_cmp_ne_u32_e32 vcc_lo, 0, v10
	v_and_or_b32 v3, 0xffe, v6, v3
	v_cndmask_b32_e64 v10, 0, 1, vcc_lo
	v_sub_nc_u32_e32 v6, 0x3f1, v13
	v_add_nc_u32_e32 v13, 0xfffffc10, v13
	v_and_or_b32 v10, 0xffe, v12, v10
	v_med3_i32 v12, v14, 0, 13
	v_or_b32_e32 v14, 0x1000, v3
	v_med3_i32 v6, v6, 0, 13
	v_or_b32_e32 v15, 0x1000, v10
	v_lshrrev_b32_e32 v16, v12, v14
	v_lshrrev_b32_e32 v17, v6, v15
	v_lshlrev_b32_e32 v12, v12, v16
	v_lshlrev_b32_e32 v6, v6, v17
	v_cmp_ne_u32_e32 vcc_lo, v12, v14
	v_lshl_or_b32 v14, v8, 12, v3
	v_cndmask_b32_e64 v12, 0, 1, vcc_lo
	v_cmp_ne_u32_e32 vcc_lo, v6, v15
	v_lshl_or_b32 v15, v13, 12, v10
	v_or_b32_e32 v12, v16, v12
	v_cndmask_b32_e64 v6, 0, 1, vcc_lo
	v_cmp_gt_i32_e32 vcc_lo, 1, v8
	v_or_b32_e32 v6, v17, v6
	v_cndmask_b32_e32 v12, v14, v12, vcc_lo
	v_cmp_gt_i32_e32 vcc_lo, 1, v13
	v_and_b32_e32 v14, 7, v12
	v_cndmask_b32_e32 v6, v15, v6, vcc_lo
	v_cmp_ne_u32_e32 vcc_lo, 0, v3
	v_lshrrev_b32_e32 v12, 2, v12
	v_cmp_eq_u32_e64 s0, 3, v14
	v_and_b32_e32 v15, 7, v6
	v_cndmask_b32_e64 v3, 0, 1, vcc_lo
	v_cmp_ne_u32_e32 vcc_lo, 0, v10
	v_lshrrev_b32_e32 v6, 2, v6
	v_cmp_lt_i32_e64 s1, 5, v15
	v_cmp_eq_u32_e64 s2, 3, v15
	v_cndmask_b32_e64 v10, 0, 1, vcc_lo
	v_cmp_lt_i32_e32 vcc_lo, 5, v14
	v_lshl_or_b32 v3, v3, 9, 0x7c00
	v_lshl_or_b32 v10, v10, 9, 0x7c00
	s_or_b32 vcc_lo, s0, vcc_lo
	v_add_co_ci_u32_e32 v12, vcc_lo, 0, v12, vcc_lo
	s_or_b32 vcc_lo, s2, s1
	v_add_co_ci_u32_e32 v6, vcc_lo, 0, v6, vcc_lo
	v_cmp_gt_i32_e32 vcc_lo, 31, v8
	v_cndmask_b32_e32 v12, 0x7c00, v12, vcc_lo
	v_cmp_gt_i32_e32 vcc_lo, 31, v13
	v_cndmask_b32_e32 v6, 0x7c00, v6, vcc_lo
	v_cmp_eq_u32_e32 vcc_lo, 0x40f, v8
	v_lshrrev_b32_e32 v8, 16, v11
	v_cndmask_b32_e32 v3, v12, v3, vcc_lo
	v_cmp_eq_u32_e32 vcc_lo, 0x40f, v13
	v_and_or_b32 v3, 0x8000, v9, v3
	v_cndmask_b32_e32 v6, v6, v10, vcc_lo
	v_and_or_b32 v6, 0x8000, v8, v6
	v_and_b32_e32 v8, 0xffff, v3
	v_add_co_u32 v3, vcc_lo, v4, s4
	v_add_co_ci_u32_e32 v4, vcc_lo, s3, v5, vcc_lo
	v_lshl_or_b32 v5, v6, 16, v8
	v_lshrrev_b32_e32 v6, 16, v7
	global_store_dword v[3:4], v5, off
	global_load_dword v5, v[0:1], off offset:1000
	s_waitcnt vmcnt(0)
	v_mul_f16_sdwa v8, v6, v5 dst_sel:DWORD dst_unused:UNUSED_PAD src0_sel:DWORD src1_sel:WORD_1
	v_mul_f16_sdwa v9, v7, v5 dst_sel:DWORD dst_unused:UNUSED_PAD src0_sel:DWORD src1_sel:WORD_1
	v_fmac_f16_e32 v8, v7, v5
	v_fma_f16 v5, v5, v6, -v9
	v_cvt_f32_f16_e32 v6, v8
	v_cvt_f32_f16_e32 v7, v5
	v_cvt_f64_f32_e32 v[5:6], v6
	v_cvt_f64_f32_e32 v[7:8], v7
	v_mul_f64 v[5:6], v[5:6], s[12:13]
	v_mul_f64 v[7:8], v[7:8], s[12:13]
	v_and_or_b32 v5, 0x1ff, v6, v5
	v_and_or_b32 v7, 0x1ff, v8, v7
	v_lshrrev_b32_e32 v9, 8, v6
	v_bfe_u32 v10, v6, 20, 11
	v_lshrrev_b32_e32 v11, 8, v8
	v_cmp_ne_u32_e32 vcc_lo, 0, v5
	v_bfe_u32 v12, v8, 20, 11
	v_lshrrev_b32_e32 v6, 16, v6
	v_sub_nc_u32_e32 v13, 0x3f1, v10
	v_add_nc_u32_e32 v10, 0xfffffc10, v10
	v_cndmask_b32_e64 v5, 0, 1, vcc_lo
	v_cmp_ne_u32_e32 vcc_lo, 0, v7
	v_lshrrev_b32_e32 v8, 16, v8
	v_and_or_b32 v5, 0xffe, v9, v5
	v_cndmask_b32_e64 v7, 0, 1, vcc_lo
	v_sub_nc_u32_e32 v9, 0x3f1, v12
	v_add_nc_u32_e32 v12, 0xfffffc10, v12
	v_and_or_b32 v7, 0xffe, v11, v7
	v_med3_i32 v11, v13, 0, 13
	v_or_b32_e32 v13, 0x1000, v5
	v_med3_i32 v9, v9, 0, 13
	v_or_b32_e32 v14, 0x1000, v7
	v_lshrrev_b32_e32 v15, v11, v13
	v_lshrrev_b32_e32 v16, v9, v14
	v_lshlrev_b32_e32 v11, v11, v15
	v_lshlrev_b32_e32 v9, v9, v16
	v_cmp_ne_u32_e32 vcc_lo, v11, v13
	v_lshl_or_b32 v13, v10, 12, v5
	v_cndmask_b32_e64 v11, 0, 1, vcc_lo
	v_cmp_ne_u32_e32 vcc_lo, v9, v14
	v_lshl_or_b32 v14, v12, 12, v7
	v_or_b32_e32 v11, v15, v11
	v_cndmask_b32_e64 v9, 0, 1, vcc_lo
	v_cmp_gt_i32_e32 vcc_lo, 1, v10
	v_or_b32_e32 v9, v16, v9
	v_cndmask_b32_e32 v11, v13, v11, vcc_lo
	v_cmp_gt_i32_e32 vcc_lo, 1, v12
	v_and_b32_e32 v13, 7, v11
	v_cndmask_b32_e32 v9, v14, v9, vcc_lo
	v_cmp_ne_u32_e32 vcc_lo, 0, v5
	v_lshrrev_b32_e32 v11, 2, v11
	v_cmp_eq_u32_e64 s0, 3, v13
	v_and_b32_e32 v14, 7, v9
	v_cndmask_b32_e64 v5, 0, 1, vcc_lo
	v_cmp_ne_u32_e32 vcc_lo, 0, v7
	v_lshrrev_b32_e32 v9, 2, v9
	v_cmp_lt_i32_e64 s1, 5, v14
	v_cmp_eq_u32_e64 s2, 3, v14
	v_cndmask_b32_e64 v7, 0, 1, vcc_lo
	v_cmp_lt_i32_e32 vcc_lo, 5, v13
	v_lshl_or_b32 v5, v5, 9, 0x7c00
	v_lshl_or_b32 v7, v7, 9, 0x7c00
	s_or_b32 vcc_lo, s0, vcc_lo
	v_add_co_ci_u32_e32 v11, vcc_lo, 0, v11, vcc_lo
	s_or_b32 vcc_lo, s2, s1
	v_add_co_ci_u32_e32 v9, vcc_lo, 0, v9, vcc_lo
	v_cmp_gt_i32_e32 vcc_lo, 31, v10
	v_cndmask_b32_e32 v11, 0x7c00, v11, vcc_lo
	v_cmp_gt_i32_e32 vcc_lo, 31, v12
	v_cndmask_b32_e32 v9, 0x7c00, v9, vcc_lo
	v_cmp_eq_u32_e32 vcc_lo, 0x40f, v10
	v_cndmask_b32_e32 v5, v11, v5, vcc_lo
	v_cmp_eq_u32_e32 vcc_lo, 0x40f, v12
	v_and_or_b32 v5, 0x8000, v6, v5
	v_cndmask_b32_e32 v7, v9, v7, vcc_lo
	v_add_co_u32 v3, vcc_lo, v3, s4
	v_add_co_ci_u32_e32 v4, vcc_lo, s3, v4, vcc_lo
	v_and_or_b32 v6, 0x8000, v8, v7
	v_and_b32_e32 v5, 0xffff, v5
	v_lshl_or_b32 v5, v6, 16, v5
	global_store_dword v[3:4], v5, off
	global_load_dword v7, v[0:1], off offset:1364
	ds_read2_b32 v[5:6], v2 offset0:85 offset1:176
	s_waitcnt lgkmcnt(0)
	v_lshrrev_b32_e32 v2, 16, v5
	s_waitcnt vmcnt(0)
	v_mul_f16_sdwa v8, v2, v7 dst_sel:DWORD dst_unused:UNUSED_PAD src0_sel:DWORD src1_sel:WORD_1
	v_mul_f16_sdwa v9, v5, v7 dst_sel:DWORD dst_unused:UNUSED_PAD src0_sel:DWORD src1_sel:WORD_1
	v_fmac_f16_e32 v8, v5, v7
	v_fma_f16 v2, v7, v2, -v9
	v_cvt_f32_f16_e32 v5, v8
	v_cvt_f32_f16_e32 v2, v2
	v_cvt_f64_f32_e32 v[7:8], v5
	v_cvt_f64_f32_e32 v[9:10], v2
	v_mul_f64 v[7:8], v[7:8], s[12:13]
	v_mul_f64 v[9:10], v[9:10], s[12:13]
	v_and_or_b32 v2, 0x1ff, v8, v7
	v_and_or_b32 v9, 0x1ff, v10, v9
	v_lshrrev_b32_e32 v5, 8, v8
	v_bfe_u32 v7, v8, 20, 11
	v_lshrrev_b32_e32 v11, 8, v10
	v_cmp_ne_u32_e32 vcc_lo, 0, v2
	v_bfe_u32 v12, v10, 20, 11
	v_lshrrev_b32_e32 v8, 16, v8
	v_sub_nc_u32_e32 v13, 0x3f1, v7
	v_add_nc_u32_e32 v7, 0xfffffc10, v7
	v_cndmask_b32_e64 v2, 0, 1, vcc_lo
	v_cmp_ne_u32_e32 vcc_lo, 0, v9
	v_and_or_b32 v2, 0xffe, v5, v2
	v_cndmask_b32_e64 v9, 0, 1, vcc_lo
	v_sub_nc_u32_e32 v5, 0x3f1, v12
	v_add_nc_u32_e32 v12, 0xfffffc10, v12
	v_and_or_b32 v9, 0xffe, v11, v9
	v_med3_i32 v11, v13, 0, 13
	v_or_b32_e32 v13, 0x1000, v2
	v_med3_i32 v5, v5, 0, 13
	v_or_b32_e32 v14, 0x1000, v9
	v_lshrrev_b32_e32 v15, v11, v13
	v_lshrrev_b32_e32 v16, v5, v14
	v_lshlrev_b32_e32 v11, v11, v15
	v_lshlrev_b32_e32 v5, v5, v16
	v_cmp_ne_u32_e32 vcc_lo, v11, v13
	v_lshl_or_b32 v13, v7, 12, v2
	v_cndmask_b32_e64 v11, 0, 1, vcc_lo
	v_cmp_ne_u32_e32 vcc_lo, v5, v14
	v_lshl_or_b32 v14, v12, 12, v9
	v_or_b32_e32 v11, v15, v11
	v_cndmask_b32_e64 v5, 0, 1, vcc_lo
	v_cmp_gt_i32_e32 vcc_lo, 1, v7
	v_or_b32_e32 v5, v16, v5
	v_cndmask_b32_e32 v11, v13, v11, vcc_lo
	v_cmp_gt_i32_e32 vcc_lo, 1, v12
	v_and_b32_e32 v13, 7, v11
	v_cndmask_b32_e32 v5, v14, v5, vcc_lo
	v_cmp_ne_u32_e32 vcc_lo, 0, v2
	v_lshrrev_b32_e32 v11, 2, v11
	v_cmp_eq_u32_e64 s0, 3, v13
	v_and_b32_e32 v14, 7, v5
	v_cndmask_b32_e64 v2, 0, 1, vcc_lo
	v_cmp_ne_u32_e32 vcc_lo, 0, v9
	v_lshrrev_b32_e32 v5, 2, v5
	v_cmp_lt_i32_e64 s1, 5, v14
	v_cmp_eq_u32_e64 s2, 3, v14
	v_cndmask_b32_e64 v9, 0, 1, vcc_lo
	v_cmp_lt_i32_e32 vcc_lo, 5, v13
	v_lshl_or_b32 v2, v2, 9, 0x7c00
	v_lshl_or_b32 v9, v9, 9, 0x7c00
	s_or_b32 vcc_lo, s0, vcc_lo
	v_add_co_ci_u32_e32 v11, vcc_lo, 0, v11, vcc_lo
	s_or_b32 vcc_lo, s2, s1
	v_add_co_ci_u32_e32 v5, vcc_lo, 0, v5, vcc_lo
	v_cmp_gt_i32_e32 vcc_lo, 31, v7
	v_cndmask_b32_e32 v11, 0x7c00, v11, vcc_lo
	v_cmp_gt_i32_e32 vcc_lo, 31, v12
	v_cndmask_b32_e32 v5, 0x7c00, v5, vcc_lo
	v_cmp_eq_u32_e32 vcc_lo, 0x40f, v7
	v_lshrrev_b32_e32 v7, 16, v10
	v_cndmask_b32_e32 v2, v11, v2, vcc_lo
	v_cmp_eq_u32_e32 vcc_lo, 0x40f, v12
	v_and_or_b32 v2, 0x8000, v8, v2
	v_cndmask_b32_e32 v5, v5, v9, vcc_lo
	v_and_or_b32 v5, 0x8000, v7, v5
	v_and_b32_e32 v7, 0xffff, v2
	v_add_co_u32 v2, vcc_lo, v3, s4
	v_add_co_ci_u32_e32 v3, vcc_lo, s3, v4, vcc_lo
	v_lshl_or_b32 v4, v5, 16, v7
	global_store_dword v[2:3], v4, off
	global_load_dword v0, v[0:1], off offset:1728
	v_lshrrev_b32_e32 v1, 16, v6
	s_waitcnt vmcnt(0)
	v_mul_f16_sdwa v4, v1, v0 dst_sel:DWORD dst_unused:UNUSED_PAD src0_sel:DWORD src1_sel:WORD_1
	v_mul_f16_sdwa v5, v6, v0 dst_sel:DWORD dst_unused:UNUSED_PAD src0_sel:DWORD src1_sel:WORD_1
	v_fmac_f16_e32 v4, v6, v0
	v_fma_f16 v0, v0, v1, -v5
	v_cvt_f32_f16_e32 v1, v4
	v_cvt_f32_f16_e32 v4, v0
	v_cvt_f64_f32_e32 v[0:1], v1
	v_cvt_f64_f32_e32 v[4:5], v4
	v_mul_f64 v[0:1], v[0:1], s[12:13]
	v_mul_f64 v[4:5], v[4:5], s[12:13]
	v_and_or_b32 v0, 0x1ff, v1, v0
	v_and_or_b32 v4, 0x1ff, v5, v4
	v_lshrrev_b32_e32 v6, 8, v1
	v_bfe_u32 v7, v1, 20, 11
	v_lshrrev_b32_e32 v8, 8, v5
	v_cmp_ne_u32_e32 vcc_lo, 0, v0
	v_bfe_u32 v9, v5, 20, 11
	v_lshrrev_b32_e32 v1, 16, v1
	v_sub_nc_u32_e32 v10, 0x3f1, v7
	v_add_nc_u32_e32 v7, 0xfffffc10, v7
	v_cndmask_b32_e64 v0, 0, 1, vcc_lo
	v_cmp_ne_u32_e32 vcc_lo, 0, v4
	v_lshrrev_b32_e32 v5, 16, v5
	v_and_or_b32 v0, 0xffe, v6, v0
	v_cndmask_b32_e64 v4, 0, 1, vcc_lo
	v_sub_nc_u32_e32 v6, 0x3f1, v9
	v_add_nc_u32_e32 v9, 0xfffffc10, v9
	v_and_or_b32 v4, 0xffe, v8, v4
	v_med3_i32 v8, v10, 0, 13
	v_or_b32_e32 v10, 0x1000, v0
	v_med3_i32 v6, v6, 0, 13
	v_or_b32_e32 v11, 0x1000, v4
	v_lshrrev_b32_e32 v12, v8, v10
	v_lshrrev_b32_e32 v13, v6, v11
	v_lshlrev_b32_e32 v8, v8, v12
	v_lshlrev_b32_e32 v6, v6, v13
	v_cmp_ne_u32_e32 vcc_lo, v8, v10
	v_lshl_or_b32 v10, v7, 12, v0
	v_cndmask_b32_e64 v8, 0, 1, vcc_lo
	v_cmp_ne_u32_e32 vcc_lo, v6, v11
	v_lshl_or_b32 v11, v9, 12, v4
	v_or_b32_e32 v8, v12, v8
	v_cndmask_b32_e64 v6, 0, 1, vcc_lo
	v_cmp_gt_i32_e32 vcc_lo, 1, v7
	v_or_b32_e32 v6, v13, v6
	v_cndmask_b32_e32 v8, v10, v8, vcc_lo
	v_cmp_gt_i32_e32 vcc_lo, 1, v9
	v_and_b32_e32 v10, 7, v8
	v_cndmask_b32_e32 v6, v11, v6, vcc_lo
	v_cmp_ne_u32_e32 vcc_lo, 0, v0
	v_lshrrev_b32_e32 v8, 2, v8
	v_cmp_eq_u32_e64 s0, 3, v10
	v_and_b32_e32 v11, 7, v6
	v_cndmask_b32_e64 v0, 0, 1, vcc_lo
	v_cmp_ne_u32_e32 vcc_lo, 0, v4
	v_lshrrev_b32_e32 v6, 2, v6
	v_cmp_lt_i32_e64 s1, 5, v11
	v_cmp_eq_u32_e64 s2, 3, v11
	v_cndmask_b32_e64 v4, 0, 1, vcc_lo
	v_cmp_lt_i32_e32 vcc_lo, 5, v10
	v_lshl_or_b32 v0, v0, 9, 0x7c00
	v_lshl_or_b32 v4, v4, 9, 0x7c00
	s_or_b32 vcc_lo, s0, vcc_lo
	v_add_co_ci_u32_e32 v8, vcc_lo, 0, v8, vcc_lo
	s_or_b32 vcc_lo, s2, s1
	v_add_co_ci_u32_e32 v6, vcc_lo, 0, v6, vcc_lo
	v_cmp_gt_i32_e32 vcc_lo, 31, v7
	v_cndmask_b32_e32 v8, 0x7c00, v8, vcc_lo
	v_cmp_gt_i32_e32 vcc_lo, 31, v9
	v_cndmask_b32_e32 v6, 0x7c00, v6, vcc_lo
	v_cmp_eq_u32_e32 vcc_lo, 0x40f, v7
	v_cndmask_b32_e32 v0, v8, v0, vcc_lo
	v_cmp_eq_u32_e32 vcc_lo, 0x40f, v9
	v_and_or_b32 v0, 0x8000, v1, v0
	v_cndmask_b32_e32 v4, v6, v4, vcc_lo
	v_and_b32_e32 v0, 0xffff, v0
	v_and_or_b32 v1, 0x8000, v5, v4
	v_lshl_or_b32 v4, v1, 16, v0
	v_add_co_u32 v0, vcc_lo, v2, s4
	v_add_co_ci_u32_e32 v1, vcc_lo, s3, v3, vcc_lo
	global_store_dword v[0:1], v4, off
.LBB0_23:
	s_endpgm
	.section	.rodata,"a",@progbits
	.p2align	6, 0x0
	.amdhsa_kernel bluestein_single_fwd_len1547_dim1_half_op_CI_CI
		.amdhsa_group_segment_fixed_size 6188
		.amdhsa_private_segment_fixed_size 0
		.amdhsa_kernarg_size 104
		.amdhsa_user_sgpr_count 6
		.amdhsa_user_sgpr_private_segment_buffer 1
		.amdhsa_user_sgpr_dispatch_ptr 0
		.amdhsa_user_sgpr_queue_ptr 0
		.amdhsa_user_sgpr_kernarg_segment_ptr 1
		.amdhsa_user_sgpr_dispatch_id 0
		.amdhsa_user_sgpr_flat_scratch_init 0
		.amdhsa_user_sgpr_private_segment_size 0
		.amdhsa_wavefront_size32 1
		.amdhsa_uses_dynamic_stack 0
		.amdhsa_system_sgpr_private_segment_wavefront_offset 0
		.amdhsa_system_sgpr_workgroup_id_x 1
		.amdhsa_system_sgpr_workgroup_id_y 0
		.amdhsa_system_sgpr_workgroup_id_z 0
		.amdhsa_system_sgpr_workgroup_info 0
		.amdhsa_system_vgpr_workitem_id 0
		.amdhsa_next_free_vgpr 195
		.amdhsa_next_free_sgpr 16
		.amdhsa_reserve_vcc 1
		.amdhsa_reserve_flat_scratch 0
		.amdhsa_float_round_mode_32 0
		.amdhsa_float_round_mode_16_64 0
		.amdhsa_float_denorm_mode_32 3
		.amdhsa_float_denorm_mode_16_64 3
		.amdhsa_dx10_clamp 1
		.amdhsa_ieee_mode 1
		.amdhsa_fp16_overflow 0
		.amdhsa_workgroup_processor_mode 1
		.amdhsa_memory_ordered 1
		.amdhsa_forward_progress 0
		.amdhsa_shared_vgpr_count 0
		.amdhsa_exception_fp_ieee_invalid_op 0
		.amdhsa_exception_fp_denorm_src 0
		.amdhsa_exception_fp_ieee_div_zero 0
		.amdhsa_exception_fp_ieee_overflow 0
		.amdhsa_exception_fp_ieee_underflow 0
		.amdhsa_exception_fp_ieee_inexact 0
		.amdhsa_exception_int_div_zero 0
	.end_amdhsa_kernel
	.text
.Lfunc_end0:
	.size	bluestein_single_fwd_len1547_dim1_half_op_CI_CI, .Lfunc_end0-bluestein_single_fwd_len1547_dim1_half_op_CI_CI
                                        ; -- End function
	.section	.AMDGPU.csdata,"",@progbits
; Kernel info:
; codeLenInByte = 34200
; NumSgprs: 18
; NumVgprs: 195
; ScratchSize: 0
; MemoryBound: 0
; FloatMode: 240
; IeeeMode: 1
; LDSByteSize: 6188 bytes/workgroup (compile time only)
; SGPRBlocks: 2
; VGPRBlocks: 24
; NumSGPRsForWavesPerEU: 18
; NumVGPRsForWavesPerEU: 195
; Occupancy: 4
; WaveLimiterHint : 1
; COMPUTE_PGM_RSRC2:SCRATCH_EN: 0
; COMPUTE_PGM_RSRC2:USER_SGPR: 6
; COMPUTE_PGM_RSRC2:TRAP_HANDLER: 0
; COMPUTE_PGM_RSRC2:TGID_X_EN: 1
; COMPUTE_PGM_RSRC2:TGID_Y_EN: 0
; COMPUTE_PGM_RSRC2:TGID_Z_EN: 0
; COMPUTE_PGM_RSRC2:TIDIG_COMP_CNT: 0
	.text
	.p2alignl 6, 3214868480
	.fill 48, 4, 3214868480
	.type	__hip_cuid_7a50bee743d8f099,@object ; @__hip_cuid_7a50bee743d8f099
	.section	.bss,"aw",@nobits
	.globl	__hip_cuid_7a50bee743d8f099
__hip_cuid_7a50bee743d8f099:
	.byte	0                               ; 0x0
	.size	__hip_cuid_7a50bee743d8f099, 1

	.ident	"AMD clang version 19.0.0git (https://github.com/RadeonOpenCompute/llvm-project roc-6.4.0 25133 c7fe45cf4b819c5991fe208aaa96edf142730f1d)"
	.section	".note.GNU-stack","",@progbits
	.addrsig
	.addrsig_sym __hip_cuid_7a50bee743d8f099
	.amdgpu_metadata
---
amdhsa.kernels:
  - .args:
      - .actual_access:  read_only
        .address_space:  global
        .offset:         0
        .size:           8
        .value_kind:     global_buffer
      - .actual_access:  read_only
        .address_space:  global
        .offset:         8
        .size:           8
        .value_kind:     global_buffer
      - .actual_access:  read_only
        .address_space:  global
        .offset:         16
        .size:           8
        .value_kind:     global_buffer
      - .actual_access:  read_only
        .address_space:  global
        .offset:         24
        .size:           8
        .value_kind:     global_buffer
      - .actual_access:  read_only
        .address_space:  global
        .offset:         32
        .size:           8
        .value_kind:     global_buffer
      - .offset:         40
        .size:           8
        .value_kind:     by_value
      - .address_space:  global
        .offset:         48
        .size:           8
        .value_kind:     global_buffer
      - .address_space:  global
        .offset:         56
        .size:           8
        .value_kind:     global_buffer
      - .address_space:  global
        .offset:         64
        .size:           8
        .value_kind:     global_buffer
      - .address_space:  global
        .offset:         72
        .size:           8
        .value_kind:     global_buffer
      - .offset:         80
        .size:           4
        .value_kind:     by_value
      - .address_space:  global
        .offset:         88
        .size:           8
        .value_kind:     global_buffer
      - .address_space:  global
        .offset:         96
        .size:           8
        .value_kind:     global_buffer
    .group_segment_fixed_size: 6188
    .kernarg_segment_align: 8
    .kernarg_segment_size: 104
    .language:       OpenCL C
    .language_version:
      - 2
      - 0
    .max_flat_workgroup_size: 119
    .name:           bluestein_single_fwd_len1547_dim1_half_op_CI_CI
    .private_segment_fixed_size: 0
    .sgpr_count:     18
    .sgpr_spill_count: 0
    .symbol:         bluestein_single_fwd_len1547_dim1_half_op_CI_CI.kd
    .uniform_work_group_size: 1
    .uses_dynamic_stack: false
    .vgpr_count:     195
    .vgpr_spill_count: 0
    .wavefront_size: 32
    .workgroup_processor_mode: 1
amdhsa.target:   amdgcn-amd-amdhsa--gfx1030
amdhsa.version:
  - 1
  - 2
...

	.end_amdgpu_metadata
